;; amdgpu-corpus repo=ROCm/composable_kernel kind=compiled arch=gfx1201 opt=O3
	.amdgcn_target "amdgcn-amd-amdhsa--gfx1201"
	.amdhsa_code_object_version 6
	.section	.text._ZN2ckL12flush_icacheEv,"axG",@progbits,_ZN2ckL12flush_icacheEv,comdat
	.globl	_ZN2ckL12flush_icacheEv         ; -- Begin function _ZN2ckL12flush_icacheEv
	.p2align	8
	.type	_ZN2ckL12flush_icacheEv,@function
_ZN2ckL12flush_icacheEv:                ; @_ZN2ckL12flush_icacheEv
; %bb.0:
	;;#ASMSTART
	s_icache_inv 
	s_nop 0 
	s_nop 0 
	;; [unrolled: 1-line block ×16, first 2 shown]
	
	;;#ASMEND
	s_endpgm
	.section	.rodata,"a",@progbits
	.p2align	6, 0x0
	.amdhsa_kernel _ZN2ckL12flush_icacheEv
		.amdhsa_group_segment_fixed_size 0
		.amdhsa_private_segment_fixed_size 0
		.amdhsa_kernarg_size 0
		.amdhsa_user_sgpr_count 0
		.amdhsa_user_sgpr_dispatch_ptr 0
		.amdhsa_user_sgpr_queue_ptr 0
		.amdhsa_user_sgpr_kernarg_segment_ptr 0
		.amdhsa_user_sgpr_dispatch_id 0
		.amdhsa_user_sgpr_private_segment_size 0
		.amdhsa_wavefront_size32 1
		.amdhsa_uses_dynamic_stack 0
		.amdhsa_enable_private_segment 0
		.amdhsa_system_sgpr_workgroup_id_x 1
		.amdhsa_system_sgpr_workgroup_id_y 0
		.amdhsa_system_sgpr_workgroup_id_z 0
		.amdhsa_system_sgpr_workgroup_info 0
		.amdhsa_system_vgpr_workitem_id 0
		.amdhsa_next_free_vgpr 1
		.amdhsa_next_free_sgpr 1
		.amdhsa_reserve_vcc 0
		.amdhsa_float_round_mode_32 0
		.amdhsa_float_round_mode_16_64 0
		.amdhsa_float_denorm_mode_32 3
		.amdhsa_float_denorm_mode_16_64 3
		.amdhsa_fp16_overflow 0
		.amdhsa_workgroup_processor_mode 1
		.amdhsa_memory_ordered 1
		.amdhsa_forward_progress 1
		.amdhsa_inst_pref_size 1
		.amdhsa_round_robin_scheduling 0
		.amdhsa_exception_fp_ieee_invalid_op 0
		.amdhsa_exception_fp_denorm_src 0
		.amdhsa_exception_fp_ieee_div_zero 0
		.amdhsa_exception_fp_ieee_overflow 0
		.amdhsa_exception_fp_ieee_underflow 0
		.amdhsa_exception_fp_ieee_inexact 0
		.amdhsa_exception_int_div_zero 0
	.end_amdhsa_kernel
	.section	.text._ZN2ckL12flush_icacheEv,"axG",@progbits,_ZN2ckL12flush_icacheEv,comdat
.Lfunc_end0:
	.size	_ZN2ckL12flush_icacheEv, .Lfunc_end0-_ZN2ckL12flush_icacheEv
                                        ; -- End function
	.set _ZN2ckL12flush_icacheEv.num_vgpr, 0
	.set _ZN2ckL12flush_icacheEv.num_agpr, 0
	.set _ZN2ckL12flush_icacheEv.numbered_sgpr, 0
	.set _ZN2ckL12flush_icacheEv.num_named_barrier, 0
	.set _ZN2ckL12flush_icacheEv.private_seg_size, 0
	.set _ZN2ckL12flush_icacheEv.uses_vcc, 0
	.set _ZN2ckL12flush_icacheEv.uses_flat_scratch, 0
	.set _ZN2ckL12flush_icacheEv.has_dyn_sized_stack, 0
	.set _ZN2ckL12flush_icacheEv.has_recursion, 0
	.set _ZN2ckL12flush_icacheEv.has_indirect_call, 0
	.section	.AMDGPU.csdata,"",@progbits
; Kernel info:
; codeLenInByte = 4
; TotalNumSgprs: 0
; NumVgprs: 0
; ScratchSize: 0
; MemoryBound: 0
; FloatMode: 240
; IeeeMode: 1
; LDSByteSize: 0 bytes/workgroup (compile time only)
; SGPRBlocks: 0
; VGPRBlocks: 0
; NumSGPRsForWavesPerEU: 1
; NumVGPRsForWavesPerEU: 1
; Occupancy: 16
; WaveLimiterHint : 0
; COMPUTE_PGM_RSRC2:SCRATCH_EN: 0
; COMPUTE_PGM_RSRC2:USER_SGPR: 0
; COMPUTE_PGM_RSRC2:TRAP_HANDLER: 0
; COMPUTE_PGM_RSRC2:TGID_X_EN: 1
; COMPUTE_PGM_RSRC2:TGID_Y_EN: 0
; COMPUTE_PGM_RSRC2:TGID_Z_EN: 0
; COMPUTE_PGM_RSRC2:TIDIG_COMP_CNT: 0
	.section	.text._ZN2ck36kernel_gemm_mupltipe_d_wmma_cshuffleINS_26GridwiseGemmMultipleD_WmmaIDF16_DF16_ffNS_5TupleIJDF16_EEEDF16_NS_16TensorDescriptorINS2_IJNS_5EmbedINS2_IJiiEEENS2_IJiNS_17integral_constantIiLi1EEEEEELb0EEENS_8RightPadIiiLb0EEESC_NS_7UnMergeINS2_IJiNS7_IiLi8EEEEEELb0EEENS_11PassThroughIiEEEEENS2_IJNS_8SequenceIJLi0EEEENSK_IJLi1EEEENSK_IJLi2EEEENSK_IJLi4EEEENSK_IJLi3EEEEEEENS2_IJNSK_IJLi1ELi2EEEESP_SO_NSK_IJLi5ELi6EEEENSK_IJLi7EEEEEEENSK_IJLi5ELi7ELi6EEEElEESW_NS2_IJNS4_INS2_IJSA_SC_SC_EEENS2_IJSL_SM_SN_EEENS2_IJSR_SP_SO_EEENSK_IJLi3ELi4EEEElEEEEES11_NS_16tensor_operation12element_wise11PassThroughES15_12AlphaBetaAddLNS_25InMemoryDataOperationEnumE0ELi128ELi64ELi64ELi16ELi16ELi8ELi4ELi2ELi128ENSK_IJLi4ELi32ELi1EEEENSK_IJLi1ELi0ELi2EEEES19_Li2ELi8ELi8ELb0ELb1ELb1ES18_S19_S19_Li2ELi8ELi8ELb0ELb1ELb1ELi1ELi1ENSK_IJLi1ELi32ELi1ELi4EEEELi8ELi2ELNS_13LoopSchedulerE0ELNS_15PipelineVersionE0EEEDF16_DF16_NS2_IJPKDF16_EEEDF16_SW_SW_NS2_IJNS4_INS2_IJSA_SC_SC_NSD_INS2_IJiNS7_IiLi128EEEEEELb0EEENSD_INS2_IJiNS7_IiLi64EEEEEELb0EEEEEENS2_IJSL_SM_SN_SP_SO_EEENS2_IJSR_SP_SO_SS_NSK_IJLi7ELi8EEEEEEENSK_IJLi5ELi6ELi7ELi8EEEElEEEEES1S_S15_S15_S16_NS_31BlockToCTileMap_M00_N0_M01AdaptILi128ELi64ES11_iEELb1EEEvPKT0_PKT1_T2_PT3_T4_T5_T6_T7_T8_T9_T10_T11_,"axG",@progbits,_ZN2ck36kernel_gemm_mupltipe_d_wmma_cshuffleINS_26GridwiseGemmMultipleD_WmmaIDF16_DF16_ffNS_5TupleIJDF16_EEEDF16_NS_16TensorDescriptorINS2_IJNS_5EmbedINS2_IJiiEEENS2_IJiNS_17integral_constantIiLi1EEEEEELb0EEENS_8RightPadIiiLb0EEESC_NS_7UnMergeINS2_IJiNS7_IiLi8EEEEEELb0EEENS_11PassThroughIiEEEEENS2_IJNS_8SequenceIJLi0EEEENSK_IJLi1EEEENSK_IJLi2EEEENSK_IJLi4EEEENSK_IJLi3EEEEEEENS2_IJNSK_IJLi1ELi2EEEESP_SO_NSK_IJLi5ELi6EEEENSK_IJLi7EEEEEEENSK_IJLi5ELi7ELi6EEEElEESW_NS2_IJNS4_INS2_IJSA_SC_SC_EEENS2_IJSL_SM_SN_EEENS2_IJSR_SP_SO_EEENSK_IJLi3ELi4EEEElEEEEES11_NS_16tensor_operation12element_wise11PassThroughES15_12AlphaBetaAddLNS_25InMemoryDataOperationEnumE0ELi128ELi64ELi64ELi16ELi16ELi8ELi4ELi2ELi128ENSK_IJLi4ELi32ELi1EEEENSK_IJLi1ELi0ELi2EEEES19_Li2ELi8ELi8ELb0ELb1ELb1ES18_S19_S19_Li2ELi8ELi8ELb0ELb1ELb1ELi1ELi1ENSK_IJLi1ELi32ELi1ELi4EEEELi8ELi2ELNS_13LoopSchedulerE0ELNS_15PipelineVersionE0EEEDF16_DF16_NS2_IJPKDF16_EEEDF16_SW_SW_NS2_IJNS4_INS2_IJSA_SC_SC_NSD_INS2_IJiNS7_IiLi128EEEEEELb0EEENSD_INS2_IJiNS7_IiLi64EEEEEELb0EEEEEENS2_IJSL_SM_SN_SP_SO_EEENS2_IJSR_SP_SO_SS_NSK_IJLi7ELi8EEEEEEENSK_IJLi5ELi6ELi7ELi8EEEElEEEEES1S_S15_S15_S16_NS_31BlockToCTileMap_M00_N0_M01AdaptILi128ELi64ES11_iEELb1EEEvPKT0_PKT1_T2_PT3_T4_T5_T6_T7_T8_T9_T10_T11_,comdat
	.protected	_ZN2ck36kernel_gemm_mupltipe_d_wmma_cshuffleINS_26GridwiseGemmMultipleD_WmmaIDF16_DF16_ffNS_5TupleIJDF16_EEEDF16_NS_16TensorDescriptorINS2_IJNS_5EmbedINS2_IJiiEEENS2_IJiNS_17integral_constantIiLi1EEEEEELb0EEENS_8RightPadIiiLb0EEESC_NS_7UnMergeINS2_IJiNS7_IiLi8EEEEEELb0EEENS_11PassThroughIiEEEEENS2_IJNS_8SequenceIJLi0EEEENSK_IJLi1EEEENSK_IJLi2EEEENSK_IJLi4EEEENSK_IJLi3EEEEEEENS2_IJNSK_IJLi1ELi2EEEESP_SO_NSK_IJLi5ELi6EEEENSK_IJLi7EEEEEEENSK_IJLi5ELi7ELi6EEEElEESW_NS2_IJNS4_INS2_IJSA_SC_SC_EEENS2_IJSL_SM_SN_EEENS2_IJSR_SP_SO_EEENSK_IJLi3ELi4EEEElEEEEES11_NS_16tensor_operation12element_wise11PassThroughES15_12AlphaBetaAddLNS_25InMemoryDataOperationEnumE0ELi128ELi64ELi64ELi16ELi16ELi8ELi4ELi2ELi128ENSK_IJLi4ELi32ELi1EEEENSK_IJLi1ELi0ELi2EEEES19_Li2ELi8ELi8ELb0ELb1ELb1ES18_S19_S19_Li2ELi8ELi8ELb0ELb1ELb1ELi1ELi1ENSK_IJLi1ELi32ELi1ELi4EEEELi8ELi2ELNS_13LoopSchedulerE0ELNS_15PipelineVersionE0EEEDF16_DF16_NS2_IJPKDF16_EEEDF16_SW_SW_NS2_IJNS4_INS2_IJSA_SC_SC_NSD_INS2_IJiNS7_IiLi128EEEEEELb0EEENSD_INS2_IJiNS7_IiLi64EEEEEELb0EEEEEENS2_IJSL_SM_SN_SP_SO_EEENS2_IJSR_SP_SO_SS_NSK_IJLi7ELi8EEEEEEENSK_IJLi5ELi6ELi7ELi8EEEElEEEEES1S_S15_S15_S16_NS_31BlockToCTileMap_M00_N0_M01AdaptILi128ELi64ES11_iEELb1EEEvPKT0_PKT1_T2_PT3_T4_T5_T6_T7_T8_T9_T10_T11_ ; -- Begin function _ZN2ck36kernel_gemm_mupltipe_d_wmma_cshuffleINS_26GridwiseGemmMultipleD_WmmaIDF16_DF16_ffNS_5TupleIJDF16_EEEDF16_NS_16TensorDescriptorINS2_IJNS_5EmbedINS2_IJiiEEENS2_IJiNS_17integral_constantIiLi1EEEEEELb0EEENS_8RightPadIiiLb0EEESC_NS_7UnMergeINS2_IJiNS7_IiLi8EEEEEELb0EEENS_11PassThroughIiEEEEENS2_IJNS_8SequenceIJLi0EEEENSK_IJLi1EEEENSK_IJLi2EEEENSK_IJLi4EEEENSK_IJLi3EEEEEEENS2_IJNSK_IJLi1ELi2EEEESP_SO_NSK_IJLi5ELi6EEEENSK_IJLi7EEEEEEENSK_IJLi5ELi7ELi6EEEElEESW_NS2_IJNS4_INS2_IJSA_SC_SC_EEENS2_IJSL_SM_SN_EEENS2_IJSR_SP_SO_EEENSK_IJLi3ELi4EEEElEEEEES11_NS_16tensor_operation12element_wise11PassThroughES15_12AlphaBetaAddLNS_25InMemoryDataOperationEnumE0ELi128ELi64ELi64ELi16ELi16ELi8ELi4ELi2ELi128ENSK_IJLi4ELi32ELi1EEEENSK_IJLi1ELi0ELi2EEEES19_Li2ELi8ELi8ELb0ELb1ELb1ES18_S19_S19_Li2ELi8ELi8ELb0ELb1ELb1ELi1ELi1ENSK_IJLi1ELi32ELi1ELi4EEEELi8ELi2ELNS_13LoopSchedulerE0ELNS_15PipelineVersionE0EEEDF16_DF16_NS2_IJPKDF16_EEEDF16_SW_SW_NS2_IJNS4_INS2_IJSA_SC_SC_NSD_INS2_IJiNS7_IiLi128EEEEEELb0EEENSD_INS2_IJiNS7_IiLi64EEEEEELb0EEEEEENS2_IJSL_SM_SN_SP_SO_EEENS2_IJSR_SP_SO_SS_NSK_IJLi7ELi8EEEEEEENSK_IJLi5ELi6ELi7ELi8EEEElEEEEES1S_S15_S15_S16_NS_31BlockToCTileMap_M00_N0_M01AdaptILi128ELi64ES11_iEELb1EEEvPKT0_PKT1_T2_PT3_T4_T5_T6_T7_T8_T9_T10_T11_
	.globl	_ZN2ck36kernel_gemm_mupltipe_d_wmma_cshuffleINS_26GridwiseGemmMultipleD_WmmaIDF16_DF16_ffNS_5TupleIJDF16_EEEDF16_NS_16TensorDescriptorINS2_IJNS_5EmbedINS2_IJiiEEENS2_IJiNS_17integral_constantIiLi1EEEEEELb0EEENS_8RightPadIiiLb0EEESC_NS_7UnMergeINS2_IJiNS7_IiLi8EEEEEELb0EEENS_11PassThroughIiEEEEENS2_IJNS_8SequenceIJLi0EEEENSK_IJLi1EEEENSK_IJLi2EEEENSK_IJLi4EEEENSK_IJLi3EEEEEEENS2_IJNSK_IJLi1ELi2EEEESP_SO_NSK_IJLi5ELi6EEEENSK_IJLi7EEEEEEENSK_IJLi5ELi7ELi6EEEElEESW_NS2_IJNS4_INS2_IJSA_SC_SC_EEENS2_IJSL_SM_SN_EEENS2_IJSR_SP_SO_EEENSK_IJLi3ELi4EEEElEEEEES11_NS_16tensor_operation12element_wise11PassThroughES15_12AlphaBetaAddLNS_25InMemoryDataOperationEnumE0ELi128ELi64ELi64ELi16ELi16ELi8ELi4ELi2ELi128ENSK_IJLi4ELi32ELi1EEEENSK_IJLi1ELi0ELi2EEEES19_Li2ELi8ELi8ELb0ELb1ELb1ES18_S19_S19_Li2ELi8ELi8ELb0ELb1ELb1ELi1ELi1ENSK_IJLi1ELi32ELi1ELi4EEEELi8ELi2ELNS_13LoopSchedulerE0ELNS_15PipelineVersionE0EEEDF16_DF16_NS2_IJPKDF16_EEEDF16_SW_SW_NS2_IJNS4_INS2_IJSA_SC_SC_NSD_INS2_IJiNS7_IiLi128EEEEEELb0EEENSD_INS2_IJiNS7_IiLi64EEEEEELb0EEEEEENS2_IJSL_SM_SN_SP_SO_EEENS2_IJSR_SP_SO_SS_NSK_IJLi7ELi8EEEEEEENSK_IJLi5ELi6ELi7ELi8EEEElEEEEES1S_S15_S15_S16_NS_31BlockToCTileMap_M00_N0_M01AdaptILi128ELi64ES11_iEELb1EEEvPKT0_PKT1_T2_PT3_T4_T5_T6_T7_T8_T9_T10_T11_
	.p2align	8
	.type	_ZN2ck36kernel_gemm_mupltipe_d_wmma_cshuffleINS_26GridwiseGemmMultipleD_WmmaIDF16_DF16_ffNS_5TupleIJDF16_EEEDF16_NS_16TensorDescriptorINS2_IJNS_5EmbedINS2_IJiiEEENS2_IJiNS_17integral_constantIiLi1EEEEEELb0EEENS_8RightPadIiiLb0EEESC_NS_7UnMergeINS2_IJiNS7_IiLi8EEEEEELb0EEENS_11PassThroughIiEEEEENS2_IJNS_8SequenceIJLi0EEEENSK_IJLi1EEEENSK_IJLi2EEEENSK_IJLi4EEEENSK_IJLi3EEEEEEENS2_IJNSK_IJLi1ELi2EEEESP_SO_NSK_IJLi5ELi6EEEENSK_IJLi7EEEEEEENSK_IJLi5ELi7ELi6EEEElEESW_NS2_IJNS4_INS2_IJSA_SC_SC_EEENS2_IJSL_SM_SN_EEENS2_IJSR_SP_SO_EEENSK_IJLi3ELi4EEEElEEEEES11_NS_16tensor_operation12element_wise11PassThroughES15_12AlphaBetaAddLNS_25InMemoryDataOperationEnumE0ELi128ELi64ELi64ELi16ELi16ELi8ELi4ELi2ELi128ENSK_IJLi4ELi32ELi1EEEENSK_IJLi1ELi0ELi2EEEES19_Li2ELi8ELi8ELb0ELb1ELb1ES18_S19_S19_Li2ELi8ELi8ELb0ELb1ELb1ELi1ELi1ENSK_IJLi1ELi32ELi1ELi4EEEELi8ELi2ELNS_13LoopSchedulerE0ELNS_15PipelineVersionE0EEEDF16_DF16_NS2_IJPKDF16_EEEDF16_SW_SW_NS2_IJNS4_INS2_IJSA_SC_SC_NSD_INS2_IJiNS7_IiLi128EEEEEELb0EEENSD_INS2_IJiNS7_IiLi64EEEEEELb0EEEEEENS2_IJSL_SM_SN_SP_SO_EEENS2_IJSR_SP_SO_SS_NSK_IJLi7ELi8EEEEEEENSK_IJLi5ELi6ELi7ELi8EEEElEEEEES1S_S15_S15_S16_NS_31BlockToCTileMap_M00_N0_M01AdaptILi128ELi64ES11_iEELb1EEEvPKT0_PKT1_T2_PT3_T4_T5_T6_T7_T8_T9_T10_T11_,@function
_ZN2ck36kernel_gemm_mupltipe_d_wmma_cshuffleINS_26GridwiseGemmMultipleD_WmmaIDF16_DF16_ffNS_5TupleIJDF16_EEEDF16_NS_16TensorDescriptorINS2_IJNS_5EmbedINS2_IJiiEEENS2_IJiNS_17integral_constantIiLi1EEEEEELb0EEENS_8RightPadIiiLb0EEESC_NS_7UnMergeINS2_IJiNS7_IiLi8EEEEEELb0EEENS_11PassThroughIiEEEEENS2_IJNS_8SequenceIJLi0EEEENSK_IJLi1EEEENSK_IJLi2EEEENSK_IJLi4EEEENSK_IJLi3EEEEEEENS2_IJNSK_IJLi1ELi2EEEESP_SO_NSK_IJLi5ELi6EEEENSK_IJLi7EEEEEEENSK_IJLi5ELi7ELi6EEEElEESW_NS2_IJNS4_INS2_IJSA_SC_SC_EEENS2_IJSL_SM_SN_EEENS2_IJSR_SP_SO_EEENSK_IJLi3ELi4EEEElEEEEES11_NS_16tensor_operation12element_wise11PassThroughES15_12AlphaBetaAddLNS_25InMemoryDataOperationEnumE0ELi128ELi64ELi64ELi16ELi16ELi8ELi4ELi2ELi128ENSK_IJLi4ELi32ELi1EEEENSK_IJLi1ELi0ELi2EEEES19_Li2ELi8ELi8ELb0ELb1ELb1ES18_S19_S19_Li2ELi8ELi8ELb0ELb1ELb1ELi1ELi1ENSK_IJLi1ELi32ELi1ELi4EEEELi8ELi2ELNS_13LoopSchedulerE0ELNS_15PipelineVersionE0EEEDF16_DF16_NS2_IJPKDF16_EEEDF16_SW_SW_NS2_IJNS4_INS2_IJSA_SC_SC_NSD_INS2_IJiNS7_IiLi128EEEEEELb0EEENSD_INS2_IJiNS7_IiLi64EEEEEELb0EEEEEENS2_IJSL_SM_SN_SP_SO_EEENS2_IJSR_SP_SO_SS_NSK_IJLi7ELi8EEEEEEENSK_IJLi5ELi6ELi7ELi8EEEElEEEEES1S_S15_S15_S16_NS_31BlockToCTileMap_M00_N0_M01AdaptILi128ELi64ES11_iEELb1EEEvPKT0_PKT1_T2_PT3_T4_T5_T6_T7_T8_T9_T10_T11_: ; @_ZN2ck36kernel_gemm_mupltipe_d_wmma_cshuffleINS_26GridwiseGemmMultipleD_WmmaIDF16_DF16_ffNS_5TupleIJDF16_EEEDF16_NS_16TensorDescriptorINS2_IJNS_5EmbedINS2_IJiiEEENS2_IJiNS_17integral_constantIiLi1EEEEEELb0EEENS_8RightPadIiiLb0EEESC_NS_7UnMergeINS2_IJiNS7_IiLi8EEEEEELb0EEENS_11PassThroughIiEEEEENS2_IJNS_8SequenceIJLi0EEEENSK_IJLi1EEEENSK_IJLi2EEEENSK_IJLi4EEEENSK_IJLi3EEEEEEENS2_IJNSK_IJLi1ELi2EEEESP_SO_NSK_IJLi5ELi6EEEENSK_IJLi7EEEEEEENSK_IJLi5ELi7ELi6EEEElEESW_NS2_IJNS4_INS2_IJSA_SC_SC_EEENS2_IJSL_SM_SN_EEENS2_IJSR_SP_SO_EEENSK_IJLi3ELi4EEEElEEEEES11_NS_16tensor_operation12element_wise11PassThroughES15_12AlphaBetaAddLNS_25InMemoryDataOperationEnumE0ELi128ELi64ELi64ELi16ELi16ELi8ELi4ELi2ELi128ENSK_IJLi4ELi32ELi1EEEENSK_IJLi1ELi0ELi2EEEES19_Li2ELi8ELi8ELb0ELb1ELb1ES18_S19_S19_Li2ELi8ELi8ELb0ELb1ELb1ELi1ELi1ENSK_IJLi1ELi32ELi1ELi4EEEELi8ELi2ELNS_13LoopSchedulerE0ELNS_15PipelineVersionE0EEEDF16_DF16_NS2_IJPKDF16_EEEDF16_SW_SW_NS2_IJNS4_INS2_IJSA_SC_SC_NSD_INS2_IJiNS7_IiLi128EEEEEELb0EEENSD_INS2_IJiNS7_IiLi64EEEEEELb0EEEEEENS2_IJSL_SM_SN_SP_SO_EEENS2_IJSR_SP_SO_SS_NSK_IJLi7ELi8EEEEEEENSK_IJLi5ELi6ELi7ELi8EEEElEEEEES1S_S15_S15_S16_NS_31BlockToCTileMap_M00_N0_M01AdaptILi128ELi64ES11_iEELb1EEEvPKT0_PKT1_T2_PT3_T4_T5_T6_T7_T8_T9_T10_T11_
; %bb.0:
	s_load_b96 s[4:6], s[0:1], 0x15c
	s_abs_i32 s9, ttmp9
	s_clause 0x1
	s_load_b128 s[20:23], s[0:1], 0x0
	s_load_b64 s[16:17], s[0:1], 0x18
	v_lshrrev_b32_e32 v20, 1, v0
	s_mov_b32 s27, 0x31004000
	v_dual_mov_b32 v57, 0 :: v_dual_and_b32 v4, 0xfc, v0
	s_mov_b32 s15, s27
	s_delay_alu instid0(VALU_DEP_2) | instskip(NEXT) | instid1(VALU_DEP_2)
	v_and_b32_e32 v2, 0x7e, v20
	v_dual_mov_b32 v31, v57 :: v_dual_and_b32 v254, 16, v20
	v_dual_mov_b32 v59, v57 :: v_dual_mov_b32 v20, v57
	v_mov_b32_e32 v22, v57
	v_mov_b32_e32 v24, v57
	s_mov_b32 s50, 0
                                        ; implicit-def: $sgpr46
                                        ; implicit-def: $sgpr47
                                        ; implicit-def: $sgpr48
                                        ; implicit-def: $sgpr49
                                        ; implicit-def: $sgpr53
                                        ; implicit-def: $sgpr52
                                        ; implicit-def: $sgpr54
                                        ; implicit-def: $sgpr55
                                        ; implicit-def: $sgpr60
                                        ; implicit-def: $sgpr56
                                        ; implicit-def: $sgpr57
                                        ; implicit-def: $sgpr61
                                        ; implicit-def: $sgpr62
                                        ; implicit-def: $sgpr58
                                        ; implicit-def: $sgpr59
                                        ; implicit-def: $sgpr63
	v_mov_b32_e32 v58, v57
	v_mov_b32_e32 v60, v57
	v_dual_mov_b32 v62, v57 :: v_dual_mov_b32 v21, v57
	s_wait_kmcnt 0x0
	s_addk_co_i32 s4, 0x7f
	s_add_co_i32 s2, s5, 63
	s_ashr_i32 s3, s4, 31
	s_ashr_i32 s5, s2, 31
	s_lshr_b32 s3, s3, 25
	s_lshr_b32 s5, s5, 26
	s_add_co_i32 s4, s4, s3
	s_add_co_i32 s2, s2, s5
	s_ashr_i32 s3, s4, 7
	s_ashr_i32 s2, s2, 6
	s_mov_b32 s24, s20
	s_mul_i32 s5, s2, s3
	v_mov_b32_e32 v61, v57
	s_abs_i32 s5, s5
	v_mov_b32_e32 v64, v57
	s_cvt_f32_u32 s7, s5
	s_sub_co_i32 s8, 0, s5
	v_dual_mov_b32 v63, v57 :: v_dual_mov_b32 v42, v57
	s_delay_alu instid0(SALU_CYCLE_1)
	v_rcp_iflag_f32_e32 v1, s7
	v_dual_mov_b32 v41, v57 :: v_dual_mov_b32 v44, v57
	v_dual_mov_b32 v43, v57 :: v_dual_mov_b32 v46, v57
	v_mov_b32_e32 v45, v57
	v_dual_mov_b32 v47, v57 :: v_dual_mov_b32 v48, v57
	v_dual_mov_b32 v33, v57 :: v_dual_mov_b32 v34, v57
	s_delay_alu instid0(TRANS32_DEP_1)
	v_readfirstlane_b32 s7, v1
	v_dual_mov_b32 v35, v57 :: v_dual_mov_b32 v36, v57
	v_dual_mov_b32 v38, v57 :: v_dual_mov_b32 v37, v57
	s_mul_f32 s7, s7, 0x4f7ffffe
	v_dual_mov_b32 v39, v57 :: v_dual_mov_b32 v40, v57
	v_mov_b32_e32 v49, v57
	s_wait_alu 0xfffe
	s_cvt_u32_f32 s7, s7
	v_mov_b32_e32 v51, v57
	v_dual_mov_b32 v53, v57 :: v_dual_mov_b32 v50, v57
	s_wait_alu 0xfffe
	s_mul_i32 s8, s8, s7
	v_mov_b32_e32 v55, v57
	s_mul_hi_u32 s8, s7, s8
	v_mov_b32_e32 v52, v57
	s_add_co_i32 s7, s7, s8
	s_ashr_i32 s8, ttmp9, 31
	s_wait_alu 0xfffe
	s_mul_hi_u32 s7, s9, s7
	v_mov_b32_e32 v25, v57
	s_wait_alu 0xfffe
	s_mul_i32 s7, s7, s5
	v_mov_b32_e32 v54, v57
	s_wait_alu 0xfffe
	s_sub_co_i32 s7, s9, s7
	v_mov_b32_e32 v27, v57
	s_wait_alu 0xfffe
	s_sub_co_i32 s9, s7, s5
	s_cmp_ge_u32 s7, s5
	v_mov_b32_e32 v56, v57
	s_cselect_b32 s7, s9, s7
	v_mov_b32_e32 v29, v57
	s_wait_alu 0xfffe
	s_sub_co_i32 s9, s7, s5
	s_cmp_ge_u32 s7, s5
	v_mov_b32_e32 v28, v57
	s_cselect_b32 s5, s9, s7
	s_abs_i32 s7, s2
	s_xor_b32 s5, s5, s8
	s_wait_alu 0xfffe
	s_cvt_f32_u32 s9, s7
	s_sub_co_i32 s10, 0, s7
	s_sub_co_i32 s5, s5, s8
	v_mov_b32_e32 v26, v57
	v_rcp_iflag_f32_e32 v1, s9
	v_dual_mov_b32 v23, v57 :: v_dual_mov_b32 v30, v57
	v_mov_b32_e32 v32, v57
	s_delay_alu instid0(TRANS32_DEP_1) | instskip(SKIP_2) | instid1(SALU_CYCLE_2)
	v_readfirstlane_b32 s9, v1
	s_mul_f32 s9, s9, 0x4f7ffffe
	s_wait_alu 0xfffe
	s_cvt_u32_f32 s9, s9
	s_wait_alu 0xfffe
	s_delay_alu instid0(SALU_CYCLE_2) | instskip(NEXT) | instid1(SALU_CYCLE_1)
	s_mul_i32 s10, s10, s9
	s_mul_hi_u32 s8, s9, s10
	s_abs_i32 s10, s5
	s_wait_alu 0xfffe
	s_add_co_i32 s9, s9, s8
	s_wait_alu 0xfffe
	s_mul_hi_u32 s8, s10, s9
	s_xor_b32 s9, s5, s2
	s_wait_alu 0xfffe
	s_mul_i32 s11, s8, s7
	s_ashr_i32 s9, s9, 31
	s_sub_co_i32 s10, s10, s11
	s_add_co_i32 s11, s8, 1
	s_sub_co_i32 s12, s10, s7
	s_cmp_ge_u32 s10, s7
	s_cselect_b32 s8, s11, s8
	s_cselect_b32 s10, s12, s10
	s_wait_alu 0xfffe
	s_add_co_i32 s11, s8, 1
	s_cmp_ge_u32 s10, s7
	s_cselect_b32 s7, s11, s8
	s_abs_i32 s8, s6
	s_abs_i32 s12, s3
	s_wait_alu 0xfffe
	s_cvt_f32_u32 s10, s8
	s_sub_co_i32 s11, 0, s8
	s_xor_b32 s7, s7, s9
	s_ashr_i32 s4, s4, 31
	v_rcp_iflag_f32_e32 v1, s10
	s_wait_alu 0xfffe
	s_sub_co_i32 s7, s7, s9
	s_delay_alu instid0(TRANS32_DEP_1) | instskip(SKIP_2) | instid1(SALU_CYCLE_2)
	v_readfirstlane_b32 s10, v1
	s_mul_f32 s10, s10, 0x4f7ffffe
	s_wait_alu 0xfffe
	s_cvt_u32_f32 s10, s10
	s_wait_alu 0xfffe
	s_delay_alu instid0(SALU_CYCLE_2)
	s_mul_i32 s11, s11, s10
	s_wait_alu 0xfffe
	s_mul_hi_u32 s11, s10, s11
	s_wait_alu 0xfffe
	s_add_co_i32 s10, s10, s11
	s_wait_alu 0xfffe
	s_mul_hi_u32 s11, s12, s10
	s_wait_alu 0xfffe
	s_mul_i32 s11, s11, s8
	s_wait_alu 0xfffe
	s_sub_co_i32 s11, s12, s11
	s_wait_alu 0xfffe
	s_sub_co_i32 s9, s11, s8
	s_cmp_ge_u32 s11, s8
	s_wait_alu 0xfffe
	s_cselect_b32 s9, s9, s11
	s_wait_alu 0xfffe
	s_sub_co_i32 s11, s9, s8
	s_cmp_ge_u32 s9, s8
	s_wait_alu 0xfffe
	s_cselect_b32 s9, s11, s9
	s_wait_alu 0xfffe
	s_xor_b32 s9, s9, s4
	s_wait_alu 0xfffe
	s_sub_co_i32 s4, s9, s4
	s_mul_i32 s9, s7, s2
	s_sub_co_i32 s3, s3, s4
	s_delay_alu instid0(SALU_CYCLE_1)
	s_cmp_lt_i32 s7, s3
	s_cselect_b32 s4, s6, s4
	s_abs_i32 s3, s7
	s_wait_alu 0xfffe
	s_sub_co_i32 s5, s5, s9
	s_mul_hi_u32 s6, s3, s10
	s_wait_alu 0xfffe
	s_mul_i32 s6, s6, s8
	s_wait_alu 0xfffe
	s_sub_co_i32 s3, s3, s6
	s_ashr_i32 s6, s7, 31
	s_sub_co_i32 s9, s3, s8
	s_cmp_ge_u32 s3, s8
	s_wait_alu 0xfffe
	s_cselect_b32 s3, s9, s3
	s_delay_alu instid0(SALU_CYCLE_1)
	s_sub_co_i32 s9, s3, s8
	s_cmp_ge_u32 s3, s8
	s_wait_alu 0xfffe
	s_cselect_b32 s8, s9, s3
	s_abs_i32 s9, s4
	s_wait_alu 0xfffe
	s_xor_b32 s8, s8, s6
	s_cvt_f32_u32 s3, s9
	s_wait_alu 0xfffe
	s_sub_co_i32 s6, s8, s6
	s_sub_co_i32 s8, 0, s9
	s_wait_alu 0xfffe
	s_mul_i32 s2, s6, s2
	v_rcp_iflag_f32_e32 v1, s3
	s_add_co_i32 s2, s2, s5
	s_delay_alu instid0(TRANS32_DEP_1)
	v_readfirstlane_b32 s3, v1
	v_lshlrev_b32_e32 v1, 1, v0
	s_mul_f32 s10, s3, 0x4f7ffffe
	s_clause 0x7
	s_load_b32 s42, s[0:1], 0x28
	s_load_b32 s43, s[0:1], 0x34
	;; [unrolled: 1-line block ×8, first 2 shown]
	v_and_b32_e32 v1, 6, v1
	s_cvt_u32_f32 s10, s10
	s_delay_alu instid0(VALU_DEP_1) | instskip(SKIP_1) | instid1(SALU_CYCLE_1)
	v_lshlrev_b32_e32 v5, 3, v1
	s_wait_alu 0xfffe
	s_mul_i32 s8, s8, s10
	s_wait_alu 0xfffe
	s_mul_hi_u32 s5, s10, s8
	s_abs_i32 s8, s2
	s_add_co_i32 s10, s10, s5
	v_or_b32_e32 v162, 0xc8, v5
	s_wait_alu 0xfffe
	s_mul_hi_u32 s5, s8, s10
	s_xor_b32 s10, s2, s4
	s_mul_i32 s12, s5, s9
	s_wait_alu 0xfffe
	s_ashr_i32 s10, s10, 31
	s_sub_co_i32 s8, s8, s12
	s_add_co_i32 s12, s5, 1
	s_wait_alu 0xfffe
	s_sub_co_i32 s13, s8, s9
	s_cmp_ge_u32 s8, s9
	s_cselect_b32 s5, s12, s5
	s_cselect_b32 s8, s13, s8
	s_add_co_i32 s12, s5, 1
	s_wait_alu 0xfffe
	s_cmp_ge_u32 s8, s9
	s_clause 0x7
	s_load_b32 s8, s[0:1], 0xa8
	s_load_b32 s36, s[0:1], 0xb8
	;; [unrolled: 1-line block ×4, first 2 shown]
	s_load_b64 s[18:19], s[0:1], 0xf8
	s_load_b32 s35, s[0:1], 0x108
	s_load_b32 s34, s[0:1], 0x114
	;; [unrolled: 1-line block ×3, first 2 shown]
	s_cselect_b32 s5, s12, s5
	s_sub_co_i32 s39, s7, s6
	s_xor_b32 s5, s5, s10
	s_mov_b32 s12, s22
	s_wait_kmcnt 0x0
	s_sub_co_i32 s19, s5, s10
	s_and_b32 s13, s23, 0xffff
	s_mul_i32 s4, s19, s4
	v_lshl_add_u32 v3, s19, 6, v2
	s_sub_co_i32 s2, s2, s4
	s_lshl_b32 s26, s11, 1
	s_wait_alu 0xfffe
	s_add_co_i32 s39, s39, s2
	s_mul_i32 s2, s42, -3
	v_lshl_add_u32 v7, s39, 7, v4
	v_mul_lo_u32 v6, v3, s44
	s_lshl_b32 s14, s8, 1
	s_and_b32 s25, s21, 0xffff
	v_lshlrev_b32_e32 v2, 4, v2
	v_mul_lo_u32 v9, v7, s42
	v_cmp_gt_i32_e64 s4, s41, v5
	v_cmp_gt_i32_e32 vcc_lo, s3, v3
	v_lshlrev_b32_e32 v4, 4, v4
	v_add_nc_u32_e32 v8, v6, v5
	v_cmp_gt_i32_e64 s7, s40, v5
	v_add_lshl_u32 v163, v6, s44, 1
	s_and_b32 s75, s4, vcc_lo
	v_add_nc_u32_e32 v14, v9, v5
	v_add_nc_u32_e32 v11, 8, v8
	v_lshlrev_b32_e32 v10, 1, v8
	v_add_lshl_u32 v12, v8, s44, 1
	v_add_nc_u32_e32 v13, 64, v8
	v_add_nc_u32_e32 v18, s42, v14
	v_lshlrev_b32_e32 v15, 1, v11
	v_add_lshl_u32 v11, v11, s44, 1
	v_lshlrev_b32_e32 v19, 1, v14
	v_add_nc_u32_e32 v14, 8, v14
	s_clause 0x3
	buffer_load_b128 v[101:104], v10, s[12:15], null offen
	buffer_load_b128 v[89:92], v15, s[12:15], null offen
	;; [unrolled: 1-line block ×4, first 2 shown]
	v_add_nc_u32_e32 v10, s42, v18
	v_add_nc_u32_e32 v8, 0x48, v8
	v_lshlrev_b32_e32 v16, 1, v13
	v_add_lshl_u32 v12, v14, s42, 1
	v_lshlrev_b32_e32 v11, 1, v14
	v_add_nc_u32_e32 v15, s42, v10
	v_lshlrev_b32_e32 v17, 1, v8
	v_lshlrev_b32_e32 v14, 1, v18
	s_clause 0x1
	buffer_load_b128 v[69:72], v16, s[12:15], null offen
	buffer_load_b128 v[205:208], v17, s[12:15], null offen
	s_clause 0x1
	buffer_load_b128 v[153:156], v19, s[24:27], null offen
	buffer_load_b128 v[137:140], v11, s[24:27], null offen
	v_add_nc_u32_e32 v11, 8, v10
	s_clause 0x1
	buffer_load_b128 v[129:132], v12, s[24:27], null offen
	buffer_load_b128 v[145:148], v14, s[24:27], null offen
	v_add3_u32 v12, s2, 64, v15
	v_lshlrev_b32_e32 v10, 1, v10
	v_lshlrev_b32_e32 v15, 1, v15
	;; [unrolled: 1-line block ×3, first 2 shown]
	v_add_lshl_u32 v11, v11, s42, 1
	v_add_nc_u32_e32 v16, s42, v12
	s_clause 0x3
	buffer_load_b128 v[157:160], v10, s[24:27], null offen
	buffer_load_b128 v[141:144], v14, s[24:27], null offen
	;; [unrolled: 1-line block ×4, first 2 shown]
	v_add_nc_u32_e32 v11, s42, v16
	v_add_nc_u32_e32 v10, 8, v12
	v_lshlrev_b32_e32 v12, 1, v12
	v_lshlrev_b32_e32 v15, 1, v16
	v_add_lshl_u32 v8, v8, s44, 1
	v_add_nc_u32_e32 v16, 8, v11
	v_lshlrev_b32_e32 v14, 1, v10
	v_add_lshl_u32 v10, v10, s42, 1
	v_lshlrev_b32_e32 v17, 1, v11
	s_clause 0x1
	buffer_load_b128 v[125:128], v12, s[24:27], null offen
	buffer_load_b128 v[97:100], v14, s[24:27], null offen
	v_lshlrev_b32_e32 v12, 1, v16
	v_add_lshl_u32 v14, v16, s42, 1
	v_add_lshl_u32 v13, v13, s44, 1
	;; [unrolled: 1-line block ×3, first 2 shown]
	s_clause 0x5
	buffer_load_b128 v[85:88], v10, s[24:27], null offen
	buffer_load_b128 v[117:120], v15, s[24:27], null offen
	;; [unrolled: 1-line block ×6, first 2 shown]
	s_clause 0x1
	buffer_load_b128 v[73:76], v8, s[12:15], null offen
	buffer_load_b128 v[77:80], v13, s[12:15], null offen
	v_and_b32_e32 v13, 15, v0
	v_and_b32_e32 v10, 3, v0
	v_lshrrev_b32_e32 v14, 6, v0
	v_mov_b32_e32 v19, v57
	s_ashr_i32 s2, s45, 31
	v_lshlrev_b32_e32 v12, 4, v13
	v_lshlrev_b32_e32 v161, 5, v10
	v_or_b32_e32 v10, v254, v13
	v_mul_u32_u24_e32 v13, 0x810, v1
	v_lshlrev_b32_e32 v1, 10, v1
	v_lshl_or_b32 v12, v14, 8, v12
	v_or_b32_e32 v14, 8, v5
	s_clause 0x1
	s_load_b64 s[30:31], s[0:1], 0x148
	s_load_b64 s[28:29], s[0:1], 0x154
	s_lshr_b32 s2, s2, 29
	v_sub_nc_u32_e32 v1, v13, v1
	s_wait_alu 0xfffe
	s_add_co_i32 s45, s45, s2
	v_cmp_gt_i32_e64 s5, s41, v14
	v_or_b32_e32 v15, 64, v5
	v_bfe_u32 v8, v0, 4, 1
	v_add_nc_u32_e32 v209, v1, v2
	v_or_b32_e32 v1, 1, v3
	v_or_b32_e32 v2, 2, v7
	;; [unrolled: 1-line block ×3, first 2 shown]
	s_and_b32 s74, s5, vcc_lo
	v_or_b32_e32 v16, 0x48, v5
	v_cmp_gt_i32_e64 s2, s3, v1
	v_or_b32_e32 v1, 1, v7
	v_cmp_gt_i32_e64 s6, s41, v15
	v_mul_u32_u24_e32 v11, 0x410, v8
	v_mul_u32_u24_e32 v8, 0x810, v8
	s_and_b32 s72, s5, s2
	s_and_b32 s73, s4, s2
	v_cmp_gt_i32_e64 s4, s43, v1
	v_cmp_gt_i32_e64 s5, s43, v2
	v_mul_lo_u32 v1, s42, v3
	v_mul_lo_u32 v2, s42, v2
	v_lshlrev_b32_e32 v10, 4, v10
	v_cmp_gt_i32_e64 s8, s40, v14
	v_cmp_gt_i32_e64 s9, s40, v15
	;; [unrolled: 1-line block ×4, first 2 shown]
	s_and_b32 s65, s6, vcc_lo
	v_cmp_gt_i32_e64 s3, s43, v7
	s_and_b32 s12, s6, s2
	v_cmp_gt_i32_e64 s6, s43, v3
	v_add_nc_u32_e32 v253, v12, v8
	v_add_nc_u32_e32 v213, v10, v11
	v_lshlrev_b32_e32 v164, 1, v6
	v_add_lshl_u32 v165, v9, s42, 1
	v_dual_mov_b32 v3, v57 :: v_dual_lshlrev_b32 v166, 1, v9
	v_dual_mov_b32 v18, v57 :: v_dual_lshlrev_b32 v167, 1, v1
	;; [unrolled: 1-line block ×3, first 2 shown]
	v_mov_b32_e32 v17, v57
	v_add_nc_u32_e32 v210, v13, v4
	v_dual_mov_b32 v1, v57 :: v_dual_mov_b32 v2, v57
	v_dual_mov_b32 v13, v57 :: v_dual_mov_b32 v4, v57
	;; [unrolled: 1-line block ×6, first 2 shown]
	v_mov_b32_e32 v14, v57
	v_mov_b32_e32 v16, v57
	s_wait_alu 0xfffe
	s_ashr_i32 s51, s45, 3
	s_mov_b32 s23, s27
	s_mov_b32 s24, s22
	s_mov_b32 s22, s26
	s_mov_b32 s21, s25
	s_mov_b32 s26, s14
	s_mov_b32 s25, s13
	s_add_co_i32 s51, s51, -2
	s_and_b32 s64, s11, vcc_lo
	s_and_b32 s11, s11, s2
	s_and_b32 s81, s7, s3
	s_and_b32 s77, s8, s3
	s_and_b32 s68, s9, s3
	s_and_b32 s66, s10, s3
	s_and_b32 s79, s8, s4
	s_and_b32 s83, s7, s4
	s_and_b32 s82, s7, s5
	s_and_b32 s78, s8, s5
	s_and_b32 s76, s8, s6
	s_and_b32 s80, s7, s6
	s_and_b32 s67, s10, s4
	s_and_b32 s70, s9, s4
	s_and_b32 s69, s9, s5
	s_and_b32 s71, s10, s5
	s_and_b32 s7, s10, s6
	s_and_b32 s9, s9, s6
                                        ; implicit-def: $sgpr15
                                        ; implicit-def: $sgpr14
                                        ; implicit-def: $sgpr13
                                        ; implicit-def: $sgpr31
                                        ; implicit-def: $sgpr42
                                        ; implicit-def: $sgpr43
                                        ; implicit-def: $sgpr44
                                        ; implicit-def: $sgpr45
.LBB1_1:                                ; =>This Inner Loop Header: Depth=1
	s_wait_loadcnt 0x11
	v_cndmask_b32_e64 v156, 0, v156, s81
	v_cndmask_b32_e64 v155, 0, v155, s81
	;; [unrolled: 1-line block ×12, first 2 shown]
	s_wait_loadcnt 0xe
	v_cndmask_b32_e64 v148, 0, v148, s83
	v_cndmask_b32_e64 v147, 0, v147, s83
	;; [unrolled: 1-line block ×4, first 2 shown]
	s_wait_loadcnt 0x0
	v_cndmask_b32_e64 v96, 0, v92, s74
	v_cndmask_b32_e64 v95, 0, v91, s74
	;; [unrolled: 1-line block ×8, first 2 shown]
	v_add_nc_u32_e32 v250, v161, v166
	v_add_nc_u32_e32 v251, v161, v165
	;; [unrolled: 1-line block ×4, first 2 shown]
	s_wait_loadcnt 0xd
	v_cndmask_b32_e64 v160, 0, v160, s82
	v_cndmask_b32_e64 v159, 0, v159, s82
	v_cndmask_b32_e64 v158, 0, v158, s82
	v_cndmask_b32_e64 v157, 0, v157, s82
	s_wait_loadcnt 0xa
	v_cndmask_b32_e64 v152, 0, v152, s80
	v_cndmask_b32_e64 v151, 0, v151, s80
	;; [unrolled: 1-line block ×4, first 2 shown]
	v_add_nc_u32_e32 v211, v161, v164
	v_cndmask_b32_e64 v136, 0, v136, s76
	v_cndmask_b32_e64 v135, 0, v135, s76
	;; [unrolled: 1-line block ×16, first 2 shown]
	ds_store_b128 v210, v[153:156]
	ds_store_b128 v210, v[145:148] offset:16
	ds_store_b128 v210, v[157:160] offset:32
	;; [unrolled: 1-line block ×11, first 2 shown]
	s_clause 0x7
	buffer_load_b128 v[153:156], v250, s[20:23], null offen offset:256
	buffer_load_b128 v[137:140], v250, s[20:23], null offen offset:272
	;; [unrolled: 1-line block ×8, first 2 shown]
	s_clause 0x1
	buffer_load_b128 v[101:104], v211, s[24:27], null offen offset:256
	buffer_load_b128 v[65:68], v211, s[24:27], null offen offset:272
	v_add_nc_u32_e32 v212, v161, v163
	s_wait_loadcnt 0x13
	v_cndmask_b32_e64 v128, 0, v128, s68
	v_cndmask_b32_e64 v127, 0, v127, s68
	v_cndmask_b32_e64 v126, 0, v126, s68
	v_cndmask_b32_e64 v125, 0, v125, s68
	s_wait_loadcnt 0x10
	v_cndmask_b32_e64 v120, 0, v120, s70
	v_cndmask_b32_e64 v119, 0, v119, s70
	v_cndmask_b32_e64 v118, 0, v118, s70
	v_cndmask_b32_e64 v117, 0, v117, s70
	;; [unrolled: 5-line block ×4, first 2 shown]
	v_cndmask_b32_e64 v229, 0, v100, s66
	v_cndmask_b32_e64 v228, 0, v99, s66
	;; [unrolled: 1-line block ×24, first 2 shown]
	s_wait_loadcnt 0xb
	v_cndmask_b32_e64 v208, 0, v76, s11
	v_cndmask_b32_e64 v207, 0, v75, s11
	;; [unrolled: 1-line block ×4, first 2 shown]
	s_and_not1_b32 s59, s59, exec_lo
	s_and_not1_b32 s62, s62, exec_lo
	;; [unrolled: 1-line block ×11, first 2 shown]
	v_add_nc_u32_e32 v163, 0x100, v163
	v_add_nc_u32_e32 v164, 0x100, v164
	;; [unrolled: 1-line block ×6, first 2 shown]
	s_and_not1_b32 s15, s15, exec_lo
	s_add_co_i32 s50, s50, 2
	s_wait_loadcnt 0x0
	scratch_store_b128 off, v[65:68], off   ; 16-byte Folded Spill
	s_clause 0x1
	buffer_load_b128 v[121:124], v212, s[24:27], null offen offset:256
	buffer_load_b128 v[113:116], v212, s[24:27], null offen offset:272
	s_wait_dscnt 0x0
	s_barrier_signal -1
	s_barrier_wait -1
	ds_load_b128 v[169:172], v213 offset:16496
	ds_load_b128 v[173:176], v253
	ds_load_b128 v[177:180], v253 offset:512
	ds_load_b128 v[181:184], v253 offset:1024
	;; [unrolled: 1-line block ×10, first 2 shown]
	v_cndmask_b32_e64 v68, 0, v80, s12
	v_cndmask_b32_e64 v67, 0, v79, s12
	;; [unrolled: 1-line block ×4, first 2 shown]
	s_wait_dscnt 0xa
	v_wmma_f32_16x16x16_f16 v[57:64], v[173:176], v[169:172], v[57:64]
	s_wait_dscnt 0x9
	v_wmma_f32_16x16x16_f16 v[33:40], v[177:180], v[169:172], v[33:40]
	;; [unrolled: 2-line block ×5, first 2 shown]
	v_wmma_f32_16x16x16_f16 v[49:56], v[177:180], v[189:192], v[49:56]
	v_wmma_f32_16x16x16_f16 v[17:24], v[181:184], v[189:192], v[17:24]
	;; [unrolled: 1-line block ×3, first 2 shown]
	s_wait_dscnt 0x4
	v_wmma_f32_16x16x16_f16 v[57:64], v[197:200], v[193:196], v[57:64]
	s_wait_dscnt 0x3
	v_wmma_f32_16x16x16_f16 v[33:40], v[201:204], v[193:196], v[33:40]
	;; [unrolled: 2-line block ×5, first 2 shown]
	v_wmma_f32_16x16x16_f16 v[49:56], v[201:204], v[222:225], v[49:56]
	v_wmma_f32_16x16x16_f16 v[17:24], v[214:217], v[222:225], v[17:24]
	v_wmma_f32_16x16x16_f16 v[9:16], v[218:221], v[222:225], v[9:16]
	ds_load_b128 v[169:172], v253 offset:8256
	ds_load_b128 v[173:176], v253 offset:8768
	;; [unrolled: 1-line block ×12, first 2 shown]
	s_wait_dscnt 0x0
	s_barrier_signal -1
	s_barrier_wait -1
	ds_store_b128 v210, v[125:128]
	ds_store_b128 v210, v[117:120] offset:16
	ds_store_b128 v210, v[109:112] offset:32
	;; [unrolled: 1-line block ×3, first 2 shown]
	s_clause 0x7
	buffer_load_b128 v[125:128], v250, s[20:23], null offen offset:384
	buffer_load_b128 v[97:100], v250, s[20:23], null offen offset:400
	;; [unrolled: 1-line block ×8, first 2 shown]
	s_clause 0x3
	buffer_load_b128 v[81:84], v211, s[24:27], null offen offset:384
	buffer_load_b128 v[69:72], v211, s[24:27], null offen offset:400
	;; [unrolled: 1-line block ×4, first 2 shown]
	ds_store_b128 v210, v[238:241] offset:2112
	ds_store_b128 v210, v[234:237] offset:2096
	ds_store_b128 v210, v[230:233] offset:2080
	ds_store_b128 v210, v[226:229] offset:2064
	ds_store_b128 v209, v[242:245] offset:16496
	ds_store_b128 v209, v[65:68] offset:16512
	ds_store_b128 v209, v[205:208] offset:17552
	ds_store_b128 v209, v[246:249] offset:17536
	s_wait_dscnt 0x0
	s_barrier_signal -1
	s_barrier_wait -1
	v_wmma_f32_16x16x16_f16 v[57:64], v[169:172], v[177:180], v[57:64]
	v_wmma_f32_16x16x16_f16 v[33:40], v[173:176], v[177:180], v[33:40]
	;; [unrolled: 1-line block ×3, first 2 shown]
	ds_load_b128 v[65:68], v213 offset:16496
	ds_load_b128 v[205:208], v253
	ds_load_b128 v[226:229], v253 offset:512
	ds_load_b128 v[230:233], v253 offset:1024
	v_wmma_f32_16x16x16_f16 v[1:8], v[189:192], v[177:180], v[1:8]
	ds_load_b128 v[177:180], v253 offset:1536
	v_wmma_f32_16x16x16_f16 v[41:48], v[169:172], v[181:184], v[41:48]
	;; [unrolled: 2-line block ×3, first 2 shown]
	v_wmma_f32_16x16x16_f16 v[33:40], v[197:200], v[201:204], v[33:40]
	v_wmma_f32_16x16x16_f16 v[25:32], v[218:221], v[201:204], v[25:32]
	;; [unrolled: 1-line block ×7, first 2 shown]
	ds_load_b128 v[173:176], v213 offset:18576
	ds_load_b128 v[181:184], v253 offset:4128
	;; [unrolled: 1-line block ×3, first 2 shown]
	v_wmma_f32_16x16x16_f16 v[49:56], v[197:200], v[214:217], v[49:56]
	v_wmma_f32_16x16x16_f16 v[17:24], v[218:221], v[214:217], v[17:24]
	;; [unrolled: 1-line block ×3, first 2 shown]
	s_wait_dscnt 0x7
	v_wmma_f32_16x16x16_f16 v[57:64], v[205:208], v[65:68], v[57:64]
	s_wait_dscnt 0x6
	v_wmma_f32_16x16x16_f16 v[33:40], v[226:229], v[65:68], v[33:40]
	;; [unrolled: 2-line block ×4, first 2 shown]
	ds_load_b128 v[65:68], v253 offset:5152
	ds_load_b128 v[189:192], v253 offset:5664
	;; [unrolled: 1-line block ×3, first 2 shown]
	s_wait_dscnt 0x6
	v_wmma_f32_16x16x16_f16 v[41:48], v[205:208], v[169:172], v[41:48]
	ds_load_b128 v[197:200], v213 offset:20656
	ds_load_b128 v[201:204], v253 offset:8256
	;; [unrolled: 1-line block ×6, first 2 shown]
	v_wmma_f32_16x16x16_f16 v[49:56], v[226:229], v[169:172], v[49:56]
	v_wmma_f32_16x16x16_f16 v[17:24], v[230:233], v[169:172], v[17:24]
	;; [unrolled: 1-line block ×3, first 2 shown]
	ds_load_b128 v[169:172], v213 offset:22736
	ds_load_b128 v[177:180], v253 offset:12384
	ds_load_b128 v[226:229], v253 offset:12896
	ds_load_b128 v[230:233], v253 offset:13408
	ds_load_b128 v[234:237], v253 offset:13920
	ds_load_b128 v[238:241], v213 offset:23248
	s_wait_dscnt 0x10
	v_wmma_f32_16x16x16_f16 v[57:64], v[181:184], v[173:176], v[57:64]
	s_wait_dscnt 0xf
	v_wmma_f32_16x16x16_f16 v[33:40], v[185:188], v[173:176], v[33:40]
	s_wait_dscnt 0xa
	s_delay_alu instid0(VALU_DEP_2) | instskip(SKIP_1) | instid1(VALU_DEP_2)
	v_wmma_f32_16x16x16_f16 v[57:64], v[201:204], v[197:200], v[57:64]
	s_wait_dscnt 0x9
	v_wmma_f32_16x16x16_f16 v[33:40], v[205:208], v[197:200], v[33:40]
	v_wmma_f32_16x16x16_f16 v[49:56], v[185:188], v[193:196], v[49:56]
	;; [unrolled: 1-line block ×4, first 2 shown]
	v_add_nc_u32_e32 v65, 0xffffffb8, v162
	v_subrev_nc_u32_e32 v66, 64, v162
	s_wait_dscnt 0x6
	v_wmma_f32_16x16x16_f16 v[49:56], v[205:208], v[222:225], v[49:56]
	v_add_nc_u32_e32 v67, -8, v162
	v_wmma_f32_16x16x16_f16 v[1:8], v[189:192], v[173:176], v[1:8]
	v_cmp_gt_i32_e64 s8, s41, v65
	v_cmp_gt_i32_e64 s7, s40, v65
	v_cmp_gt_i32_e64 s9, s40, v66
	v_cmp_gt_i32_e64 s10, s41, v66
	v_cmp_gt_i32_e64 s11, s40, v67
	s_and_b32 s75, vcc_lo, s8
	s_and_b32 s73, s2, s8
	v_cmp_gt_i32_e64 s8, s41, v162
	s_and_b32 s81, s3, s7
	s_and_b32 s77, s3, s9
	s_and_b32 s79, s4, s9
	s_and_b32 s83, s4, s7
	s_and_b32 s78, s5, s9
	s_and_b32 s76, s6, s9
	s_and_b32 s74, vcc_lo, s10
	s_and_b32 s72, s2, s10
	s_and_b32 s68, s3, s11
	;; [unrolled: 1-line block ×5, first 2 shown]
	s_and_b32 s64, vcc_lo, s8
	s_and_b32 s11, s2, s8
	s_and_not1_b32 s8, s63, exec_lo
	s_wait_alu 0xfffe
	s_and_b32 s10, s81, exec_lo
	s_and_b32 s84, s77, exec_lo
	s_and_b32 s82, s5, s7
	s_wait_alu 0xfffe
	s_or_b32 s63, s8, s10
	s_or_b32 s59, s59, s84
	s_and_not1_b32 s8, s58, exec_lo
	s_and_b32 s10, s79, exec_lo
	s_and_b32 s84, s83, exec_lo
	s_and_b32 s80, s6, s7
	s_wait_alu 0xfffe
	s_or_b32 s58, s8, s10
	s_or_b32 s62, s62, s84
	s_and_not1_b32 s8, s61, exec_lo
	s_and_b32 s10, s82, exec_lo
	s_and_b32 s84, s78, exec_lo
	v_cmp_gt_i32_e64 s7, s40, v162
	s_wait_alu 0xfffe
	s_or_b32 s61, s8, s10
	s_or_b32 s57, s57, s84
	s_and_not1_b32 s8, s56, exec_lo
	s_and_b32 s10, s76, exec_lo
	s_and_b32 s84, s80, exec_lo
	s_wait_alu 0xfffe
	s_or_b32 s56, s8, s10
	s_or_b32 s60, s60, s84
	s_and_not1_b32 s8, s55, exec_lo
	s_and_b32 s10, s75, exec_lo
	s_and_b32 s84, s74, exec_lo
	s_and_b32 s66, s3, s7
	s_wait_alu 0xfffe
	s_or_b32 s55, s8, s10
	s_or_b32 s54, s54, s84
	s_and_not1_b32 s8, s52, exec_lo
	s_and_b32 s10, s72, exec_lo
	s_and_b32 s84, s73, exec_lo
	v_wmma_f32_16x16x16_f16 v[41:48], v[181:184], v[193:196], v[41:48]
	v_wmma_f32_16x16x16_f16 v[9:16], v[189:192], v[193:196], v[9:16]
	s_and_b32 s67, s4, s7
	s_wait_alu 0xfffe
	s_or_b32 s52, s8, s10
	s_or_b32 s53, s53, s84
	s_and_not1_b32 s8, s49, exec_lo
	s_and_b32 s10, s68, exec_lo
	s_and_b32 s84, s66, exec_lo
	v_cmp_gt_i32_e64 s12, s41, v67
	s_and_b32 s71, s5, s7
	s_wait_alu 0xfffe
	s_or_b32 s49, s8, s10
	s_or_b32 s45, s45, s84
	s_and_not1_b32 s8, s44, exec_lo
	s_and_b32 s10, s67, exec_lo
	s_and_b32 s84, s70, exec_lo
	s_and_b32 s7, s6, s7
	s_wait_alu 0xfffe
	s_or_b32 s44, s8, s10
	s_or_b32 s48, s48, s84
	s_and_not1_b32 s8, s47, exec_lo
	s_and_b32 s10, s69, exec_lo
	s_and_b32 s84, s71, exec_lo
	v_wmma_f32_16x16x16_f16 v[25:32], v[214:217], v[197:200], v[25:32]
	v_wmma_f32_16x16x16_f16 v[1:8], v[218:221], v[197:200], v[1:8]
	;; [unrolled: 1-line block ×5, first 2 shown]
	s_and_b32 s65, vcc_lo, s12
	s_wait_alu 0xfffe
	s_or_b32 s47, s8, s10
	s_or_b32 s43, s43, s84
	s_and_not1_b32 s8, s42, exec_lo
	s_and_b32 s10, s7, exec_lo
	s_and_b32 s84, s9, exec_lo
	s_and_b32 s12, s2, s12
	s_wait_alu 0xfffe
	s_or_b32 s42, s8, s10
	s_or_b32 s46, s46, s84
	s_wait_kmcnt 0x0
	s_and_not1_b32 s8, s31, exec_lo
	s_and_b32 s10, s65, exec_lo
	s_and_b32 s84, s64, exec_lo
	s_wait_dscnt 0x4
	v_wmma_f32_16x16x16_f16 v[57:64], v[177:180], v[169:172], v[57:64]
	s_wait_dscnt 0x3
	v_wmma_f32_16x16x16_f16 v[33:40], v[226:229], v[169:172], v[33:40]
	;; [unrolled: 2-line block ×5, first 2 shown]
	v_wmma_f32_16x16x16_f16 v[49:56], v[226:229], v[238:241], v[49:56]
	v_wmma_f32_16x16x16_f16 v[17:24], v[230:233], v[238:241], v[17:24]
	;; [unrolled: 1-line block ×3, first 2 shown]
	v_add_nc_u32_e32 v162, 0x80, v162
	s_wait_alu 0xfffe
	s_or_b32 s31, s8, s10
	s_or_b32 s13, s13, s84
	s_and_not1_b32 s8, s14, exec_lo
	s_and_b32 s10, s11, exec_lo
	s_and_b32 s84, s12, exec_lo
	s_wait_alu 0xfffe
	s_or_b32 s14, s8, s10
	s_or_b32 s15, s15, s84
	s_cmp_lt_i32 s50, s51
	s_wait_loadcnt 0x4
	v_dual_mov_b32 v245, v88 :: v_dual_mov_b32 v244, v87
	s_wait_loadcnt 0x2
	v_dual_mov_b32 v208, v72 :: v_dual_mov_b32 v207, v71
	v_dual_mov_b32 v206, v70 :: v_dual_mov_b32 v205, v69
	;; [unrolled: 1-line block ×6, first 2 shown]
	scratch_load_b128 v[89:92], off, off    ; 16-byte Folded Reload
	v_dual_mov_b32 v243, v86 :: v_dual_mov_b32 v242, v85
	v_dual_mov_b32 v85, v93 :: v_dual_mov_b32 v86, v94
	v_dual_mov_b32 v87, v95 :: v_dual_mov_b32 v88, v96
	s_wait_dscnt 0x0
	s_barrier_signal -1
	s_barrier_wait -1
	s_cbranch_scc1 .LBB1_1
; %bb.2:
	v_cndmask_b32_e64 v68, 0, v156, s63
	v_cndmask_b32_e64 v67, 0, v155, s63
	;; [unrolled: 1-line block ×32, first 2 shown]
	ds_store_b128 v210, v[65:68]
	ds_store_b128 v210, v[145:148] offset:16
	ds_store_b128 v210, v[153:156] offset:32
	;; [unrolled: 1-line block ×5, first 2 shown]
	v_cndmask_b32_e64 v68, 0, v104, s55
	v_cndmask_b32_e64 v67, 0, v103, s55
	;; [unrolled: 1-line block ×12, first 2 shown]
	s_wait_loadcnt 0x0
	v_cndmask_b32_e64 v96, 0, v92, s54
	v_cndmask_b32_e64 v95, 0, v91, s54
	;; [unrolled: 1-line block ×4, first 2 shown]
	ds_store_b128 v210, v[129:132] offset:2080
	ds_store_b128 v210, v[137:140] offset:2064
	;; [unrolled: 1-line block ×6, first 2 shown]
	v_cndmask_b32_e64 v68, 0, v128, s49
	v_cndmask_b32_e64 v67, 0, v127, s49
	;; [unrolled: 1-line block ×32, first 2 shown]
	s_wait_dscnt 0x0
	s_barrier_signal -1
	s_barrier_wait -1
	ds_load_b128 v[109:112], v253
	ds_load_b128 v[249:252], v253 offset:512
	ds_load_b128 v[165:168], v253 offset:4128
	;; [unrolled: 1-line block ×23, first 2 shown]
	s_wait_dscnt 0x0
	s_barrier_signal -1
	s_barrier_wait -1
	ds_store_b128 v210, v[65:68]
	ds_store_b128 v210, v[93:96] offset:16
	ds_store_b128 v210, v[101:104] offset:32
	;; [unrolled: 1-line block ×7, first 2 shown]
	v_cndmask_b32_e64 v68, 0, v72, s31
	v_cndmask_b32_e64 v67, 0, v71, s31
	;; [unrolled: 1-line block ×16, first 2 shown]
	ds_store_b128 v209, v[65:68] offset:16496
	ds_store_b128 v209, v[69:72] offset:16512
	;; [unrolled: 1-line block ×4, first 2 shown]
	v_lshrrev_b32_e32 v65, 6, v0
	v_lshrrev_b32_e32 v66, 1, v0
	s_wait_dscnt 0x0
	s_barrier_signal -1
	s_barrier_wait -1
	v_lshlrev_b32_e32 v65, 4, v65
	v_and_b32_e32 v66, 8, v66
	ds_load_b128 v[225:228], v253
	ds_load_b128 v[221:224], v213 offset:16496
	ds_load_b128 v[229:232], v213 offset:17008
	;; [unrolled: 1-line block ×11, first 2 shown]
	v_wmma_f32_16x16x16_f16 v[57:64], v[109:112], v[201:204], v[57:64]
	v_and_or_b32 v65, v65, 16, v66
	v_lshlrev_b32_e32 v66, 2, v254
	v_wmma_f32_16x16x16_f16 v[9:16], v[189:192], v[217:220], v[9:16]
	v_wmma_f32_16x16x16_f16 v[1:8], v[189:192], v[201:204], v[1:8]
	;; [unrolled: 1-line block ×3, first 2 shown]
	s_load_b64 s[8:9], s[0:1], 0x10
	v_lshl_or_b32 v65, v65, 7, v66
	v_and_b32_e32 v66, 15, v0
	v_wmma_f32_16x16x16_f16 v[9:16], v[173:176], v[197:200], v[9:16]
	v_wmma_f32_16x16x16_f16 v[57:64], v[149:152], v[177:180], v[57:64]
	;; [unrolled: 1-line block ×3, first 2 shown]
	s_lshl_b32 s10, s18, 1
	v_lshl_add_u32 v254, v66, 2, v65
	ds_load_b128 v[65:68], v213 offset:22736
	ds_load_b128 v[97:100], v213 offset:23248
	;; [unrolled: 1-line block ×10, first 2 shown]
	v_wmma_f32_16x16x16_f16 v[57:64], v[137:140], v[129:132], v[57:64]
	v_wmma_f32_16x16x16_f16 v[9:16], v[153:156], v[185:188], v[9:16]
	;; [unrolled: 1-line block ×3, first 2 shown]
	s_mov_b32 s11, 0x31004000
	v_wmma_f32_16x16x16_f16 v[33:40], v[249:252], v[201:204], v[33:40]
	s_wait_dscnt 0x14
	v_wmma_f32_16x16x16_f16 v[57:64], v[225:228], v[221:224], v[57:64]
	v_wmma_f32_16x16x16_f16 v[9:16], v[125:128], v[169:172], v[9:16]
	;; [unrolled: 1-line block ×5, first 2 shown]
	s_wait_dscnt 0x10
	v_wmma_f32_16x16x16_f16 v[57:64], v[205:208], v[77:80], v[57:64]
	s_wait_kmcnt 0x0
	s_and_b32 s9, s9, 0xffff
	v_wmma_f32_16x16x16_f16 v[41:48], v[109:112], v[217:220], v[41:48]
	v_wmma_f32_16x16x16_f16 v[25:32], v[181:184], v[193:196], v[25:32]
	;; [unrolled: 1-line block ×3, first 2 shown]
	s_wait_dscnt 0xc
	v_wmma_f32_16x16x16_f16 v[57:64], v[209:212], v[73:76], v[57:64]
	s_lshl_b32 s18, s30, 1
	v_wmma_f32_16x16x16_f16 v[41:48], v[165:168], v[197:200], v[41:48]
	v_wmma_f32_16x16x16_f16 v[25:32], v[161:164], v[177:180], v[25:32]
	s_wait_dscnt 0x0
	scratch_store_b128 off, v[69:72], off offset:16 ; 16-byte Folded Spill
	ds_load_b128 v[69:72], v253 offset:13408
	ds_load_b128 v[81:84], v253 offset:13920
	v_wmma_f32_16x16x16_f16 v[57:64], v[213:216], v[65:68], v[57:64]
	v_wmma_f32_16x16x16_f16 v[33:40], v[133:136], v[129:132], v[33:40]
	v_wmma_f32_16x16x16_f16 v[25:32], v[141:144], v[129:132], v[25:32]
	v_wmma_f32_16x16x16_f16 v[41:48], v[149:152], v[185:188], v[41:48]
	s_and_b32 s17, s17, 0xffff
	v_wmma_f32_16x16x16_f16 v[49:56], v[249:252], v[217:220], v[49:56]
	s_lshl_b32 s5, s35, 5
	s_lshl_b32 s6, s36, 5
	v_wmma_f32_16x16x16_f16 v[41:48], v[137:140], v[169:172], v[41:48]
	v_wmma_f32_16x16x16_f16 v[33:40], v[233:236], v[221:224], v[33:40]
	;; [unrolled: 1-line block ×11, first 2 shown]
	s_wait_dscnt 0x0
	scratch_store_b128 off, v[81:84], off   ; 16-byte Folded Spill
	s_wait_dscnt 0x0
	s_barrier_signal -1
	s_barrier_wait -1
	ds_store_2addr_b32 v254, v57, v58 offset1:32
	ds_store_2addr_b32 v254, v59, v60 offset0:64 offset1:96
	ds_store_2addr_b32 v254, v61, v62 offset0:128 offset1:160
	;; [unrolled: 1-line block ×3, first 2 shown]
	v_lshlrev_b32_e32 v57, 3, v0
	v_lshrrev_b32_e32 v59, 7, v0
	v_bfe_u32 v58, v0, 2, 5
	s_wait_dscnt 0x0
	s_barrier_signal -1
	v_and_b32_e32 v57, 24, v57
	v_lshlrev_b32_e32 v60, 12, v59
	v_add_nc_u32_e32 v59, s39, v59
	v_lshlrev_b32_e32 v0, 7, v58
	s_barrier_wait -1
	v_lshl_or_b32 v125, s19, 6, v57
	v_lshlrev_b32_e32 v61, 2, v57
	v_lshl_or_b32 v128, v59, 7, v58
	v_wmma_f32_16x16x16_f16 v[41:48], v[209:212], v[93:96], v[41:48]
	s_wait_alu 0xfffe
	s_mov_b32 s19, s11
	v_cmp_gt_i32_e32 vcc_lo, s38, v125
	v_or3_b32 v0, v0, v60, v61
	v_mad_co_u64_u32 v[126:127], null, v128, s36, v[125:126]
	v_cmp_gt_i32_e64 s2, s33, v128
	v_cmp_gt_i32_e64 s3, s34, v128
	v_wmma_f32_16x16x16_f16 v[41:48], v[213:216], v[97:100], v[41:48]
	v_wmma_f32_16x16x16_f16 v[49:56], v[133:136], v[169:172], v[49:56]
	;; [unrolled: 1-line block ×3, first 2 shown]
	s_and_b32 s0, vcc_lo, s2
	v_lshlrev_b32_e32 v57, 1, v126
	v_wmma_f32_16x16x16_f16 v[25:32], v[105:108], v[73:76], v[25:32]
	v_wmma_f32_16x16x16_f16 v[49:56], v[233:236], v[229:232], v[49:56]
	;; [unrolled: 1-line block ×4, first 2 shown]
	buffer_load_b128 v[57:60], v57, s[8:11], null offen
	v_wmma_f32_16x16x16_f16 v[25:32], v[69:72], v[65:68], v[25:32]
	v_wmma_f32_16x16x16_f16 v[49:56], v[113:116], v[89:92], v[49:56]
	;; [unrolled: 1-line block ×5, first 2 shown]
	s_delay_alu instid0(VALU_DEP_4) | instskip(NEXT) | instid1(VALU_DEP_4)
	v_wmma_f32_16x16x16_f16 v[49:56], v[117:120], v[93:96], v[49:56]
	v_wmma_f32_16x16x16_f16 v[9:16], v[85:88], v[89:92], v[9:16]
	s_delay_alu instid0(VALU_DEP_4) | instskip(NEXT) | instid1(VALU_DEP_4)
	v_wmma_f32_16x16x16_f16 v[17:24], v[241:244], v[229:232], v[17:24]
	v_wmma_f32_16x16x16_f16 v[1:8], v[85:88], v[77:80], v[1:8]
	s_delay_alu instid0(VALU_DEP_4) | instskip(NEXT) | instid1(VALU_DEP_3)
	v_wmma_f32_16x16x16_f16 v[49:56], v[121:124], v[97:100], v[49:56]
	v_wmma_f32_16x16x16_f16 v[17:24], v[101:104], v[89:92], v[17:24]
	s_delay_alu instid0(VALU_DEP_1) | instskip(NEXT) | instid1(VALU_DEP_1)
	v_wmma_f32_16x16x16_f16 v[17:24], v[105:108], v[93:96], v[17:24]
	v_wmma_f32_16x16x16_f16 v[17:24], v[69:72], v[97:100], v[17:24]
	s_wait_loadcnt 0x0
	v_cndmask_b32_e64 v127, 0, v59, s0
	v_cndmask_b32_e64 v129, 0, v60, s0
	;; [unrolled: 1-line block ×4, first 2 shown]
	v_cmp_gt_i32_e64 s0, s37, v125
	v_cvt_f32_f16_e32 v59, v127
	s_and_b32 s1, s0, s3
	s_delay_alu instid0(VALU_DEP_1) | instskip(SKIP_1) | instid1(VALU_DEP_1)
	v_mul_f32_e32 v63, s29, v59
	v_cvt_f32_f16_e64 v59, v129
	v_mul_f32_e32 v64, s29, v59
	ds_load_b128 v[59:62], v0 offset:16
	ds_load_b128 v[109:112], v0
	s_wait_dscnt 0x1
	v_fma_mixlo_f16 v63, v59, s28, v63
	v_lshrrev_b32_e32 v59, 16, v129
	v_fma_mixlo_f16 v64, v61, s28, v64
	s_delay_alu instid0(VALU_DEP_2) | instskip(NEXT) | instid1(VALU_DEP_1)
	v_cvt_f32_f16_e32 v59, v59
	v_mul_f32_e32 v59, s29, v59
	s_delay_alu instid0(VALU_DEP_1) | instskip(SKIP_1) | instid1(VALU_DEP_1)
	v_fma_mixhi_f16 v64, v62, s28, v59
	v_lshrrev_b32_e32 v59, 16, v127
	v_cvt_f32_f16_e32 v59, v59
	s_delay_alu instid0(VALU_DEP_1) | instskip(NEXT) | instid1(VALU_DEP_1)
	v_mul_f32_e32 v59, s29, v59
	v_fma_mixhi_f16 v63, v60, s28, v59
	v_cvt_f32_f16_e32 v59, v57
	v_lshrrev_b32_e32 v57, 16, v57
	s_delay_alu instid0(VALU_DEP_2) | instskip(NEXT) | instid1(VALU_DEP_2)
	v_mul_f32_e32 v59, s29, v59
	v_cvt_f32_f16_e32 v57, v57
	s_wait_dscnt 0x0
	s_delay_alu instid0(VALU_DEP_2) | instskip(SKIP_3) | instid1(VALU_DEP_3)
	v_fma_mixlo_f16 v61, v109, s28, v59
	v_cvt_f32_f16_e32 v59, v58
	v_lshrrev_b32_e32 v58, 16, v58
	v_mul_f32_e32 v57, s29, v57
	v_mul_f32_e32 v59, s29, v59
	s_delay_alu instid0(VALU_DEP_3) | instskip(NEXT) | instid1(VALU_DEP_3)
	v_cvt_f32_f16_e32 v58, v58
	v_fma_mixhi_f16 v61, v110, s28, v57
	v_mad_co_u64_u32 v[109:110], null, v128, s35, v[125:126]
	s_delay_alu instid0(VALU_DEP_4) | instskip(NEXT) | instid1(VALU_DEP_4)
	v_fma_mixlo_f16 v62, v111, s28, v59
	v_mul_f32_e32 v58, s29, v58
	s_wait_alu 0xfffe
	v_cndmask_b32_e64 v57, 0x80000000, 0, s1
	s_delay_alu instid0(VALU_DEP_2) | instskip(NEXT) | instid1(VALU_DEP_2)
	v_fma_mixhi_f16 v62, v112, s28, v58
	v_lshl_add_u32 v57, v109, 1, v57
	buffer_store_b128 v[61:64], v57, s[16:19], null offen
	v_add_nc_u32_e32 v62, 32, v126
	s_wait_dscnt 0x0
	s_barrier_signal -1
	s_barrier_wait -1
	ds_store_2addr_b32 v254, v41, v42 offset1:32
	ds_store_2addr_b32 v254, v43, v44 offset0:64 offset1:96
	ds_store_2addr_b32 v254, v45, v46 offset0:128 offset1:160
	;; [unrolled: 1-line block ×3, first 2 shown]
	v_lshlrev_b32_e32 v41, 1, v62
	s_wait_dscnt 0x0
	s_barrier_signal -1
	s_barrier_wait -1
	v_or_b32_e32 v61, 32, v125
	buffer_load_b128 v[41:44], v41, s[8:11], null offen
	v_cmp_gt_i32_e64 s1, s38, v61
	s_and_b32 s2, s2, s1
	s_wait_loadcnt 0x0
	s_wait_alu 0xfffe
	v_cndmask_b32_e64 v63, 0, v43, s2
	v_cndmask_b32_e64 v64, 0, v44, s2
	;; [unrolled: 1-line block ×4, first 2 shown]
	v_cmp_gt_i32_e64 s2, s37, v61
	v_cvt_f32_f16_e32 v43, v63
	s_and_b32 s3, s3, s2
	s_delay_alu instid0(VALU_DEP_1) | instskip(SKIP_1) | instid1(VALU_DEP_1)
	v_mul_f32_e32 v47, s29, v43
	v_cvt_f32_f16_e32 v43, v64
	v_mul_f32_e32 v48, s29, v43
	ds_load_b128 v[43:46], v0 offset:16
	ds_load_b128 v[57:60], v0
	s_wait_dscnt 0x1
	v_fma_mixlo_f16 v47, v43, s28, v47
	v_lshrrev_b32_e32 v43, 16, v64
	v_fma_mixlo_f16 v48, v45, s28, v48
	s_delay_alu instid0(VALU_DEP_2) | instskip(NEXT) | instid1(VALU_DEP_1)
	v_cvt_f32_f16_e32 v43, v43
	v_mul_f32_e32 v43, s29, v43
	s_delay_alu instid0(VALU_DEP_1) | instskip(SKIP_1) | instid1(VALU_DEP_1)
	v_fma_mixhi_f16 v48, v46, s28, v43
	v_lshrrev_b32_e32 v43, 16, v63
	v_cvt_f32_f16_e32 v43, v43
	s_delay_alu instid0(VALU_DEP_1) | instskip(NEXT) | instid1(VALU_DEP_1)
	v_mul_f32_e32 v43, s29, v43
	v_fma_mixhi_f16 v47, v44, s28, v43
	v_cvt_f32_f16_e32 v43, v41
	v_lshrrev_b32_e32 v41, 16, v41
	s_delay_alu instid0(VALU_DEP_2) | instskip(NEXT) | instid1(VALU_DEP_2)
	v_mul_f32_e32 v43, s29, v43
	v_cvt_f32_f16_e32 v41, v41
	s_wait_dscnt 0x0
	s_delay_alu instid0(VALU_DEP_2) | instskip(SKIP_4) | instid1(VALU_DEP_4)
	v_fma_mixlo_f16 v45, v57, s28, v43
	v_cvt_f32_f16_e32 v43, v42
	v_lshrrev_b32_e32 v42, 16, v42
	v_mul_f32_e32 v41, s29, v41
	v_add_nc_u32_e32 v57, 32, v109
	v_mul_f32_e32 v43, s29, v43
	s_delay_alu instid0(VALU_DEP_4) | instskip(NEXT) | instid1(VALU_DEP_4)
	v_cvt_f32_f16_e32 v42, v42
	v_fma_mixhi_f16 v45, v58, s28, v41
	s_wait_alu 0xfffe
	v_cndmask_b32_e64 v41, 0x80000000, 0, s3
	v_fma_mixlo_f16 v46, v59, s28, v43
	v_mul_f32_e32 v42, s29, v42
	s_delay_alu instid0(VALU_DEP_3) | instskip(NEXT) | instid1(VALU_DEP_2)
	v_lshl_add_u32 v41, v57, 1, v41
	v_fma_mixhi_f16 v46, v60, s28, v42
	buffer_store_b128 v[45:48], v41, s[16:19], null offen
	v_add_lshl_u32 v41, v62, s6, 1
	s_wait_dscnt 0x0
	s_barrier_signal -1
	s_barrier_wait -1
	ds_store_2addr_b32 v254, v49, v50 offset1:32
	ds_store_2addr_b32 v254, v51, v52 offset0:64 offset1:96
	ds_store_2addr_b32 v254, v53, v54 offset0:128 offset1:160
	;; [unrolled: 1-line block ×3, first 2 shown]
	s_wait_dscnt 0x0
	s_barrier_signal -1
	s_barrier_wait -1
	buffer_load_b128 v[41:44], v41, s[8:11], null offen
	v_or_b32_e32 v55, 32, v128
	s_delay_alu instid0(VALU_DEP_1)
	v_cmp_gt_i32_e64 s3, s33, v55
	s_and_b32 s4, s1, s3
	s_and_b32 s3, vcc_lo, s3
	s_wait_loadcnt 0x0
	v_cndmask_b32_e64 v51, 0, v43, s4
	v_cndmask_b32_e64 v56, 0, v44, s4
	;; [unrolled: 1-line block ×4, first 2 shown]
	v_cmp_gt_i32_e64 s4, s34, v55
	v_cvt_f32_f16_e32 v43, v51
	s_and_b32 s7, s2, s4
	s_delay_alu instid0(VALU_DEP_1) | instskip(SKIP_1) | instid1(VALU_DEP_1)
	v_mul_f32_e32 v52, s29, v43
	v_cvt_f32_f16_e32 v43, v56
	v_mul_f32_e32 v54, s29, v43
	ds_load_b128 v[43:46], v0 offset:16
	ds_load_b128 v[47:50], v0
	s_wait_dscnt 0x1
	v_fma_mixlo_f16 v53, v43, s28, v52
	v_lshrrev_b32_e32 v43, 16, v56
	v_fma_mixlo_f16 v54, v45, s28, v54
	s_delay_alu instid0(VALU_DEP_2) | instskip(NEXT) | instid1(VALU_DEP_1)
	v_cvt_f32_f16_e32 v43, v43
	v_mul_f32_e32 v43, s29, v43
	s_delay_alu instid0(VALU_DEP_1) | instskip(SKIP_1) | instid1(VALU_DEP_1)
	v_fma_mixhi_f16 v54, v46, s28, v43
	v_lshrrev_b32_e32 v43, 16, v51
	v_cvt_f32_f16_e32 v43, v43
	s_delay_alu instid0(VALU_DEP_1) | instskip(NEXT) | instid1(VALU_DEP_1)
	v_mul_f32_e32 v43, s29, v43
	v_fma_mixhi_f16 v53, v44, s28, v43
	v_cvt_f32_f16_e32 v43, v41
	v_lshrrev_b32_e32 v41, 16, v41
	s_delay_alu instid0(VALU_DEP_2) | instskip(NEXT) | instid1(VALU_DEP_2)
	v_mul_f32_e32 v43, s29, v43
	v_cvt_f32_f16_e32 v41, v41
	s_wait_dscnt 0x0
	s_delay_alu instid0(VALU_DEP_2) | instskip(SKIP_4) | instid1(VALU_DEP_4)
	v_fma_mixlo_f16 v51, v47, s28, v43
	v_cvt_f32_f16_e32 v43, v42
	v_lshrrev_b32_e32 v42, 16, v42
	v_add_nc_u32_e32 v47, s6, v126
	v_mul_f32_e32 v41, s29, v41
	v_mul_f32_e32 v43, s29, v43
	s_delay_alu instid0(VALU_DEP_4) | instskip(NEXT) | instid1(VALU_DEP_3)
	v_cvt_f32_f16_e32 v42, v42
	v_fma_mixhi_f16 v51, v48, s28, v41
	v_add_nc_u32_e32 v41, s5, v57
	s_delay_alu instid0(VALU_DEP_4) | instskip(NEXT) | instid1(VALU_DEP_4)
	v_fma_mixlo_f16 v52, v49, s28, v43
	v_mul_f32_e32 v42, s29, v42
	s_delay_alu instid0(VALU_DEP_1) | instskip(SKIP_2) | instid1(VALU_DEP_1)
	v_fma_mixhi_f16 v52, v50, s28, v42
	s_wait_alu 0xfffe
	v_cndmask_b32_e64 v42, 0x80000000, 0, s7
	v_lshl_add_u32 v41, v41, 1, v42
	buffer_store_b128 v[51:54], v41, s[16:19], null offen
	s_wait_dscnt 0x0
	s_barrier_signal -1
	s_barrier_wait -1
	ds_store_2addr_b32 v254, v33, v34 offset1:32
	ds_store_2addr_b32 v254, v35, v36 offset0:64 offset1:96
	ds_store_2addr_b32 v254, v37, v38 offset0:128 offset1:160
	;; [unrolled: 1-line block ×3, first 2 shown]
	v_lshlrev_b32_e32 v33, 1, v47
	s_wait_dscnt 0x0
	s_barrier_signal -1
	s_barrier_wait -1
	buffer_load_b128 v[33:36], v33, s[8:11], null offen
	s_wait_loadcnt 0x0
	v_cndmask_b32_e64 v43, 0, v35, s3
	v_cndmask_b32_e64 v48, 0, v36, s3
	;; [unrolled: 1-line block ×4, first 2 shown]
	s_and_b32 s3, s0, s4
	v_cvt_f32_f16_e32 v35, v43
	s_delay_alu instid0(VALU_DEP_1) | instskip(SKIP_1) | instid1(VALU_DEP_1)
	v_mul_f32_e32 v44, s29, v35
	v_cvt_f32_f16_e32 v35, v48
	v_mul_f32_e32 v46, s29, v35
	ds_load_b128 v[35:38], v0 offset:16
	ds_load_b128 v[39:42], v0
	s_wait_dscnt 0x1
	v_fma_mixlo_f16 v45, v35, s28, v44
	v_lshrrev_b32_e32 v35, 16, v48
	v_fma_mixlo_f16 v46, v37, s28, v46
	s_delay_alu instid0(VALU_DEP_2) | instskip(NEXT) | instid1(VALU_DEP_1)
	v_cvt_f32_f16_e32 v35, v35
	v_mul_f32_e32 v35, s29, v35
	s_delay_alu instid0(VALU_DEP_1) | instskip(SKIP_1) | instid1(VALU_DEP_1)
	v_fma_mixhi_f16 v46, v38, s28, v35
	v_lshrrev_b32_e32 v35, 16, v43
	v_cvt_f32_f16_e32 v35, v35
	s_delay_alu instid0(VALU_DEP_1) | instskip(NEXT) | instid1(VALU_DEP_1)
	v_mul_f32_e32 v35, s29, v35
	v_fma_mixhi_f16 v45, v36, s28, v35
	v_cvt_f32_f16_e32 v35, v33
	v_lshrrev_b32_e32 v33, 16, v33
	s_delay_alu instid0(VALU_DEP_2) | instskip(NEXT) | instid1(VALU_DEP_2)
	v_mul_f32_e32 v35, s29, v35
	v_cvt_f32_f16_e32 v33, v33
	s_wait_dscnt 0x0
	s_delay_alu instid0(VALU_DEP_2) | instskip(SKIP_4) | instid1(VALU_DEP_4)
	v_fma_mixlo_f16 v43, v39, s28, v35
	v_cvt_f32_f16_e32 v35, v34
	v_lshrrev_b32_e32 v34, 16, v34
	v_mul_f32_e32 v33, s29, v33
	v_add_nc_u32_e32 v39, s5, v109
	v_mul_f32_e32 v35, s29, v35
	s_delay_alu instid0(VALU_DEP_4) | instskip(NEXT) | instid1(VALU_DEP_4)
	v_cvt_f32_f16_e32 v34, v34
	v_fma_mixhi_f16 v43, v40, s28, v33
	s_wait_alu 0xfffe
	v_cndmask_b32_e64 v33, 0x80000000, 0, s3
	v_add_nc_u32_e32 v40, s6, v47
	v_fma_mixlo_f16 v44, v41, s28, v35
	v_mul_f32_e32 v34, s29, v34
	v_or_b32_e32 v41, 64, v128
	v_lshl_add_u32 v33, v39, 1, v33
	s_delay_alu instid0(VALU_DEP_3) | instskip(NEXT) | instid1(VALU_DEP_3)
	v_fma_mixhi_f16 v44, v42, s28, v34
	v_cmp_gt_i32_e64 s3, s33, v41
	buffer_store_b128 v[43:46], v33, s[16:19], null offen
	s_wait_dscnt 0x0
	s_barrier_signal -1
	s_barrier_wait -1
	ds_store_2addr_b32 v254, v25, v26 offset1:32
	ds_store_2addr_b32 v254, v27, v28 offset0:64 offset1:96
	ds_store_2addr_b32 v254, v29, v30 offset0:128 offset1:160
	;; [unrolled: 1-line block ×3, first 2 shown]
	v_lshlrev_b32_e32 v25, 1, v40
	s_wait_dscnt 0x0
	s_barrier_signal -1
	s_barrier_wait -1
	s_and_b32 s4, vcc_lo, s3
	buffer_load_b128 v[25:28], v25, s[8:11], null offen
	s_and_b32 s3, s1, s3
	s_wait_loadcnt 0x0
	v_cndmask_b32_e64 v35, 0, v27, s4
	v_cndmask_b32_e64 v42, 0, v28, s4
	;; [unrolled: 1-line block ×4, first 2 shown]
	v_cmp_gt_i32_e64 s4, s34, v41
	v_cvt_f32_f16_e32 v27, v35
	s_and_b32 s7, s0, s4
	s_delay_alu instid0(VALU_DEP_1) | instskip(SKIP_1) | instid1(VALU_DEP_1)
	v_mul_f32_e32 v36, s29, v27
	v_cvt_f32_f16_e32 v27, v42
	v_mul_f32_e32 v38, s29, v27
	ds_load_b128 v[27:30], v0 offset:16
	ds_load_b128 v[31:34], v0
	s_wait_dscnt 0x1
	v_fma_mixlo_f16 v37, v27, s28, v36
	v_lshrrev_b32_e32 v27, 16, v42
	v_fma_mixlo_f16 v38, v29, s28, v38
	s_delay_alu instid0(VALU_DEP_2) | instskip(NEXT) | instid1(VALU_DEP_1)
	v_cvt_f32_f16_e32 v27, v27
	v_mul_f32_e32 v27, s29, v27
	s_delay_alu instid0(VALU_DEP_1) | instskip(SKIP_1) | instid1(VALU_DEP_1)
	v_fma_mixhi_f16 v38, v30, s28, v27
	v_lshrrev_b32_e32 v27, 16, v35
	v_cvt_f32_f16_e32 v27, v27
	s_delay_alu instid0(VALU_DEP_1) | instskip(NEXT) | instid1(VALU_DEP_1)
	v_mul_f32_e32 v27, s29, v27
	v_fma_mixhi_f16 v37, v28, s28, v27
	v_cvt_f32_f16_e32 v27, v25
	v_lshrrev_b32_e32 v25, 16, v25
	s_delay_alu instid0(VALU_DEP_2) | instskip(NEXT) | instid1(VALU_DEP_2)
	v_mul_f32_e32 v27, s29, v27
	v_cvt_f32_f16_e32 v25, v25
	s_wait_dscnt 0x0
	s_delay_alu instid0(VALU_DEP_2) | instskip(SKIP_4) | instid1(VALU_DEP_4)
	v_fma_mixlo_f16 v35, v31, s28, v27
	v_cvt_f32_f16_e32 v27, v26
	v_lshrrev_b32_e32 v26, 16, v26
	v_add_nc_u32_e32 v31, s5, v39
	v_mul_f32_e32 v25, s29, v25
	v_mul_f32_e32 v27, s29, v27
	s_delay_alu instid0(VALU_DEP_4) | instskip(NEXT) | instid1(VALU_DEP_3)
	v_cvt_f32_f16_e32 v26, v26
	v_fma_mixhi_f16 v35, v32, s28, v25
	s_wait_alu 0xfffe
	v_cndmask_b32_e64 v25, 0x80000000, 0, s7
	v_fma_mixlo_f16 v36, v33, s28, v27
	v_mul_f32_e32 v26, s29, v26
	v_add_nc_u32_e32 v32, 32, v40
	s_delay_alu instid0(VALU_DEP_4) | instskip(NEXT) | instid1(VALU_DEP_3)
	v_lshl_add_u32 v25, v31, 1, v25
	v_fma_mixhi_f16 v36, v34, s28, v26
	buffer_store_b128 v[35:38], v25, s[16:19], null offen
	s_wait_dscnt 0x0
	s_barrier_signal -1
	s_barrier_wait -1
	ds_store_2addr_b32 v254, v17, v18 offset1:32
	ds_store_2addr_b32 v254, v19, v20 offset0:64 offset1:96
	ds_store_2addr_b32 v254, v21, v22 offset0:128 offset1:160
	;; [unrolled: 1-line block ×3, first 2 shown]
	v_lshlrev_b32_e32 v17, 1, v32
	s_wait_dscnt 0x0
	s_barrier_signal -1
	s_barrier_wait -1
	buffer_load_b128 v[17:20], v17, s[8:11], null offen
	s_wait_loadcnt 0x0
	v_cndmask_b32_e64 v27, 0, v19, s3
	v_cndmask_b32_e64 v33, 0, v20, s3
	;; [unrolled: 1-line block ×4, first 2 shown]
	s_and_b32 s3, s2, s4
	v_cvt_f32_f16_e32 v19, v27
	s_delay_alu instid0(VALU_DEP_1) | instskip(SKIP_1) | instid1(VALU_DEP_1)
	v_mul_f32_e32 v28, s29, v19
	v_cvt_f32_f16_e32 v19, v33
	v_mul_f32_e32 v30, s29, v19
	ds_load_b128 v[19:22], v0 offset:16
	ds_load_b128 v[23:26], v0
	s_wait_dscnt 0x1
	v_fma_mixlo_f16 v29, v19, s28, v28
	v_lshrrev_b32_e32 v19, 16, v33
	v_fma_mixlo_f16 v30, v21, s28, v30
	s_delay_alu instid0(VALU_DEP_2) | instskip(NEXT) | instid1(VALU_DEP_1)
	v_cvt_f32_f16_e32 v19, v19
	v_mul_f32_e32 v19, s29, v19
	s_delay_alu instid0(VALU_DEP_1) | instskip(SKIP_1) | instid1(VALU_DEP_1)
	v_fma_mixhi_f16 v30, v22, s28, v19
	v_lshrrev_b32_e32 v19, 16, v27
	v_cvt_f32_f16_e32 v19, v19
	s_delay_alu instid0(VALU_DEP_1) | instskip(NEXT) | instid1(VALU_DEP_1)
	v_mul_f32_e32 v19, s29, v19
	v_fma_mixhi_f16 v29, v20, s28, v19
	v_cvt_f32_f16_e32 v19, v17
	v_lshrrev_b32_e32 v17, 16, v17
	s_delay_alu instid0(VALU_DEP_2) | instskip(NEXT) | instid1(VALU_DEP_2)
	v_mul_f32_e32 v19, s29, v19
	v_cvt_f32_f16_e32 v17, v17
	s_wait_dscnt 0x0
	s_delay_alu instid0(VALU_DEP_2) | instskip(SKIP_3) | instid1(VALU_DEP_3)
	v_fma_mixlo_f16 v27, v23, s28, v19
	v_cvt_f32_f16_e32 v19, v18
	v_lshrrev_b32_e32 v18, 16, v18
	v_mul_f32_e32 v17, s29, v17
	v_mul_f32_e32 v19, s29, v19
	s_delay_alu instid0(VALU_DEP_3) | instskip(NEXT) | instid1(VALU_DEP_3)
	v_cvt_f32_f16_e32 v18, v18
	v_fma_mixhi_f16 v27, v24, s28, v17
	s_wait_alu 0xfffe
	v_cndmask_b32_e64 v17, 0x80000000, 0, s3
	v_fma_mixlo_f16 v28, v25, s28, v19
	v_mul_f32_e32 v18, s29, v18
	scratch_load_b128 v[19:22], off, off offset:16 th:TH_LOAD_LU ; 16-byte Folded Reload
	v_fma_mixhi_f16 v28, v26, s28, v18
	v_add_nc_u32_e32 v18, 32, v31
	s_delay_alu instid0(VALU_DEP_1)
	v_lshl_add_u32 v17, v18, 1, v17
	v_add_nc_u32_e32 v24, s5, v18
	buffer_store_b128 v[27:30], v17, s[16:19], null offen
	scratch_load_b128 v[27:30], off, off th:TH_LOAD_LU ; 16-byte Folded Reload
	s_wait_dscnt 0x0
	s_barrier_signal -1
	s_barrier_wait -1
	s_wait_loadcnt 0x1
	v_wmma_f32_16x16x16_f16 v[9:16], v[19:22], v[93:96], v[9:16]
	v_wmma_f32_16x16x16_f16 v[1:8], v[19:22], v[73:76], v[1:8]
	s_wait_loadcnt 0x0
	s_delay_alu instid0(VALU_DEP_2)
	v_wmma_f32_16x16x16_f16 v[9:16], v[27:30], v[97:100], v[9:16]
	ds_store_2addr_b32 v254, v9, v10 offset1:32
	ds_store_2addr_b32 v254, v11, v12 offset0:64 offset1:96
	ds_store_2addr_b32 v254, v13, v14 offset0:128 offset1:160
	;; [unrolled: 1-line block ×3, first 2 shown]
	v_add_lshl_u32 v9, v32, s6, 1
	s_wait_dscnt 0x0
	s_barrier_signal -1
	s_barrier_wait -1
	v_or_b32_e32 v13, 0x60, v128
	buffer_load_b128 v[9:12], v9, s[8:11], null offen
	v_wmma_f32_16x16x16_f16 v[1:8], v[27:30], v[65:68], v[1:8]
	v_cmp_gt_i32_e64 s4, s33, v13
	v_cmp_gt_i32_e64 s3, s34, v13
	s_and_b32 s1, s1, s4
	s_and_b32 s2, s2, s3
	s_and_b32 vcc_lo, vcc_lo, s4
	s_wait_alu 0xfffe
	v_cndmask_b32_e64 v23, 0x80000000, 0, s2
	s_and_b32 s0, s0, s3
	s_wait_loadcnt 0x0
	v_cndmask_b32_e64 v19, 0, v11, s1
	v_cndmask_b32_e64 v20, 0, v12, s1
	ds_load_b128 v[11:14], v0 offset:16
	ds_load_b128 v[15:18], v0
	v_cndmask_b32_e64 v9, 0, v9, s1
	v_cndmask_b32_e64 v10, 0, v10, s1
	v_cvt_f32_f16_e32 v21, v19
	v_cvt_f32_f16_e32 v22, v20
	v_lshrrev_b32_e32 v20, 16, v20
	v_lshrrev_b32_e32 v19, 16, v19
	v_cvt_f32_f16_e32 v25, v9
	v_cvt_f32_f16_e32 v26, v10
	v_lshrrev_b32_e32 v10, 16, v10
	v_lshrrev_b32_e32 v9, 16, v9
	v_dual_mul_f32 v21, s29, v21 :: v_dual_mul_f32 v22, s29, v22
	v_cvt_f32_f16_e32 v20, v20
	v_cvt_f32_f16_e32 v19, v19
	v_dual_mul_f32 v25, s29, v25 :: v_dual_mul_f32 v26, s29, v26
	v_cvt_f32_f16_e32 v10, v10
	v_cvt_f32_f16_e32 v9, v9
	s_wait_dscnt 0x1
	v_fma_mixlo_f16 v21, v11, s28, v21
	v_fma_mixlo_f16 v22, v13, s28, v22
	v_mul_f32_e32 v11, s29, v20
	v_mul_f32_e32 v13, s29, v19
	s_wait_dscnt 0x0
	v_fma_mixlo_f16 v19, v15, s28, v25
	v_fma_mixlo_f16 v20, v17, s28, v26
	v_dual_mul_f32 v10, s29, v10 :: v_dual_mul_f32 v9, s29, v9
	v_lshl_add_u32 v15, v24, 1, v23
	v_fma_mixhi_f16 v22, v14, s28, v11
	v_fma_mixhi_f16 v21, v12, s28, v13
	s_delay_alu instid0(VALU_DEP_4)
	v_fma_mixhi_f16 v20, v18, s28, v10
	v_fma_mixhi_f16 v19, v16, s28, v9
	v_add_lshl_u32 v9, v40, s6, 1
	s_wait_alu 0xfffe
	v_cndmask_b32_e64 v11, 0x80000000, 0, s0
	buffer_store_b128 v[19:22], v15, s[16:19], null offen
	s_wait_dscnt 0x0
	s_barrier_signal -1
	s_barrier_wait -1
	ds_store_2addr_b32 v254, v1, v2 offset1:32
	ds_store_2addr_b32 v254, v3, v4 offset0:64 offset1:96
	ds_store_2addr_b32 v254, v5, v6 offset0:128 offset1:160
	;; [unrolled: 1-line block ×3, first 2 shown]
	s_wait_dscnt 0x0
	s_barrier_signal -1
	s_barrier_wait -1
	buffer_load_b128 v[1:4], v9, s[8:11], null offen
	s_wait_loadcnt 0x0
	v_dual_cndmask_b32 v12, 0, v3 :: v_dual_cndmask_b32 v13, 0, v4
	ds_load_b128 v[3:6], v0 offset:16
	ds_load_b128 v[7:10], v0
	v_dual_cndmask_b32 v0, 0, v1 :: v_dual_cndmask_b32 v1, 0, v2
	v_cvt_f32_f16_e32 v2, v12
	v_cvt_f32_f16_e32 v14, v13
	v_lshrrev_b32_e32 v13, 16, v13
	v_lshrrev_b32_e32 v12, 16, v12
	v_cvt_f32_f16_e32 v15, v0
	v_cvt_f32_f16_e32 v16, v1
	v_lshrrev_b32_e32 v1, 16, v1
	v_lshrrev_b32_e32 v0, 16, v0
	v_mul_f32_e32 v2, s29, v2
	v_mul_f32_e32 v14, s29, v14
	v_cvt_f32_f16_e32 v13, v13
	v_cvt_f32_f16_e32 v12, v12
	v_dual_mul_f32 v15, s29, v15 :: v_dual_mul_f32 v16, s29, v16
	v_cvt_f32_f16_e32 v17, v1
	v_cvt_f32_f16_e32 v18, v0
	s_wait_dscnt 0x1
	v_fma_mixlo_f16 v2, v3, s28, v2
	v_fma_mixlo_f16 v3, v5, s28, v14
	v_dual_mul_f32 v5, s29, v13 :: v_dual_mul_f32 v12, s29, v12
	s_wait_dscnt 0x0
	v_fma_mixlo_f16 v0, v7, s28, v15
	v_fma_mixlo_f16 v1, v9, s28, v16
	v_mul_f32_e32 v7, s29, v17
	v_mul_f32_e32 v9, s29, v18
	v_add_nc_u32_e32 v13, s5, v31
	v_fma_mixhi_f16 v3, v6, s28, v5
	v_fma_mixhi_f16 v2, v4, s28, v12
	;; [unrolled: 1-line block ×4, first 2 shown]
	v_lshl_add_u32 v4, v13, 1, v11
	buffer_store_b128 v[0:3], v4, s[16:19], null offen
	s_nop 0
	s_sendmsg sendmsg(MSG_DEALLOC_VGPRS)
	s_endpgm
	.section	.rodata,"a",@progbits
	.p2align	6, 0x0
	.amdhsa_kernel _ZN2ck36kernel_gemm_mupltipe_d_wmma_cshuffleINS_26GridwiseGemmMultipleD_WmmaIDF16_DF16_ffNS_5TupleIJDF16_EEEDF16_NS_16TensorDescriptorINS2_IJNS_5EmbedINS2_IJiiEEENS2_IJiNS_17integral_constantIiLi1EEEEEELb0EEENS_8RightPadIiiLb0EEESC_NS_7UnMergeINS2_IJiNS7_IiLi8EEEEEELb0EEENS_11PassThroughIiEEEEENS2_IJNS_8SequenceIJLi0EEEENSK_IJLi1EEEENSK_IJLi2EEEENSK_IJLi4EEEENSK_IJLi3EEEEEEENS2_IJNSK_IJLi1ELi2EEEESP_SO_NSK_IJLi5ELi6EEEENSK_IJLi7EEEEEEENSK_IJLi5ELi7ELi6EEEElEESW_NS2_IJNS4_INS2_IJSA_SC_SC_EEENS2_IJSL_SM_SN_EEENS2_IJSR_SP_SO_EEENSK_IJLi3ELi4EEEElEEEEES11_NS_16tensor_operation12element_wise11PassThroughES15_12AlphaBetaAddLNS_25InMemoryDataOperationEnumE0ELi128ELi64ELi64ELi16ELi16ELi8ELi4ELi2ELi128ENSK_IJLi4ELi32ELi1EEEENSK_IJLi1ELi0ELi2EEEES19_Li2ELi8ELi8ELb0ELb1ELb1ES18_S19_S19_Li2ELi8ELi8ELb0ELb1ELb1ELi1ELi1ENSK_IJLi1ELi32ELi1ELi4EEEELi8ELi2ELNS_13LoopSchedulerE0ELNS_15PipelineVersionE0EEEDF16_DF16_NS2_IJPKDF16_EEEDF16_SW_SW_NS2_IJNS4_INS2_IJSA_SC_SC_NSD_INS2_IJiNS7_IiLi128EEEEEELb0EEENSD_INS2_IJiNS7_IiLi64EEEEEELb0EEEEEENS2_IJSL_SM_SN_SP_SO_EEENS2_IJSR_SP_SO_SS_NSK_IJLi7ELi8EEEEEEENSK_IJLi5ELi6ELi7ELi8EEEElEEEEES1S_S15_S15_S16_NS_31BlockToCTileMap_M00_N0_M01AdaptILi128ELi64ES11_iEELb1EEEvPKT0_PKT1_T2_PT3_T4_T5_T6_T7_T8_T9_T10_T11_
		.amdhsa_group_segment_fixed_size 24800
		.amdhsa_private_segment_fixed_size 36
		.amdhsa_kernarg_size 360
		.amdhsa_user_sgpr_count 2
		.amdhsa_user_sgpr_dispatch_ptr 0
		.amdhsa_user_sgpr_queue_ptr 0
		.amdhsa_user_sgpr_kernarg_segment_ptr 1
		.amdhsa_user_sgpr_dispatch_id 0
		.amdhsa_user_sgpr_private_segment_size 0
		.amdhsa_wavefront_size32 1
		.amdhsa_uses_dynamic_stack 0
		.amdhsa_enable_private_segment 1
		.amdhsa_system_sgpr_workgroup_id_x 1
		.amdhsa_system_sgpr_workgroup_id_y 0
		.amdhsa_system_sgpr_workgroup_id_z 0
		.amdhsa_system_sgpr_workgroup_info 0
		.amdhsa_system_vgpr_workitem_id 0
		.amdhsa_next_free_vgpr 256
		.amdhsa_next_free_sgpr 85
		.amdhsa_reserve_vcc 1
		.amdhsa_float_round_mode_32 0
		.amdhsa_float_round_mode_16_64 0
		.amdhsa_float_denorm_mode_32 3
		.amdhsa_float_denorm_mode_16_64 3
		.amdhsa_fp16_overflow 0
		.amdhsa_workgroup_processor_mode 1
		.amdhsa_memory_ordered 1
		.amdhsa_forward_progress 1
		.amdhsa_inst_pref_size 83
		.amdhsa_round_robin_scheduling 0
		.amdhsa_exception_fp_ieee_invalid_op 0
		.amdhsa_exception_fp_denorm_src 0
		.amdhsa_exception_fp_ieee_div_zero 0
		.amdhsa_exception_fp_ieee_overflow 0
		.amdhsa_exception_fp_ieee_underflow 0
		.amdhsa_exception_fp_ieee_inexact 0
		.amdhsa_exception_int_div_zero 0
	.end_amdhsa_kernel
	.section	.text._ZN2ck36kernel_gemm_mupltipe_d_wmma_cshuffleINS_26GridwiseGemmMultipleD_WmmaIDF16_DF16_ffNS_5TupleIJDF16_EEEDF16_NS_16TensorDescriptorINS2_IJNS_5EmbedINS2_IJiiEEENS2_IJiNS_17integral_constantIiLi1EEEEEELb0EEENS_8RightPadIiiLb0EEESC_NS_7UnMergeINS2_IJiNS7_IiLi8EEEEEELb0EEENS_11PassThroughIiEEEEENS2_IJNS_8SequenceIJLi0EEEENSK_IJLi1EEEENSK_IJLi2EEEENSK_IJLi4EEEENSK_IJLi3EEEEEEENS2_IJNSK_IJLi1ELi2EEEESP_SO_NSK_IJLi5ELi6EEEENSK_IJLi7EEEEEEENSK_IJLi5ELi7ELi6EEEElEESW_NS2_IJNS4_INS2_IJSA_SC_SC_EEENS2_IJSL_SM_SN_EEENS2_IJSR_SP_SO_EEENSK_IJLi3ELi4EEEElEEEEES11_NS_16tensor_operation12element_wise11PassThroughES15_12AlphaBetaAddLNS_25InMemoryDataOperationEnumE0ELi128ELi64ELi64ELi16ELi16ELi8ELi4ELi2ELi128ENSK_IJLi4ELi32ELi1EEEENSK_IJLi1ELi0ELi2EEEES19_Li2ELi8ELi8ELb0ELb1ELb1ES18_S19_S19_Li2ELi8ELi8ELb0ELb1ELb1ELi1ELi1ENSK_IJLi1ELi32ELi1ELi4EEEELi8ELi2ELNS_13LoopSchedulerE0ELNS_15PipelineVersionE0EEEDF16_DF16_NS2_IJPKDF16_EEEDF16_SW_SW_NS2_IJNS4_INS2_IJSA_SC_SC_NSD_INS2_IJiNS7_IiLi128EEEEEELb0EEENSD_INS2_IJiNS7_IiLi64EEEEEELb0EEEEEENS2_IJSL_SM_SN_SP_SO_EEENS2_IJSR_SP_SO_SS_NSK_IJLi7ELi8EEEEEEENSK_IJLi5ELi6ELi7ELi8EEEElEEEEES1S_S15_S15_S16_NS_31BlockToCTileMap_M00_N0_M01AdaptILi128ELi64ES11_iEELb1EEEvPKT0_PKT1_T2_PT3_T4_T5_T6_T7_T8_T9_T10_T11_,"axG",@progbits,_ZN2ck36kernel_gemm_mupltipe_d_wmma_cshuffleINS_26GridwiseGemmMultipleD_WmmaIDF16_DF16_ffNS_5TupleIJDF16_EEEDF16_NS_16TensorDescriptorINS2_IJNS_5EmbedINS2_IJiiEEENS2_IJiNS_17integral_constantIiLi1EEEEEELb0EEENS_8RightPadIiiLb0EEESC_NS_7UnMergeINS2_IJiNS7_IiLi8EEEEEELb0EEENS_11PassThroughIiEEEEENS2_IJNS_8SequenceIJLi0EEEENSK_IJLi1EEEENSK_IJLi2EEEENSK_IJLi4EEEENSK_IJLi3EEEEEEENS2_IJNSK_IJLi1ELi2EEEESP_SO_NSK_IJLi5ELi6EEEENSK_IJLi7EEEEEEENSK_IJLi5ELi7ELi6EEEElEESW_NS2_IJNS4_INS2_IJSA_SC_SC_EEENS2_IJSL_SM_SN_EEENS2_IJSR_SP_SO_EEENSK_IJLi3ELi4EEEElEEEEES11_NS_16tensor_operation12element_wise11PassThroughES15_12AlphaBetaAddLNS_25InMemoryDataOperationEnumE0ELi128ELi64ELi64ELi16ELi16ELi8ELi4ELi2ELi128ENSK_IJLi4ELi32ELi1EEEENSK_IJLi1ELi0ELi2EEEES19_Li2ELi8ELi8ELb0ELb1ELb1ES18_S19_S19_Li2ELi8ELi8ELb0ELb1ELb1ELi1ELi1ENSK_IJLi1ELi32ELi1ELi4EEEELi8ELi2ELNS_13LoopSchedulerE0ELNS_15PipelineVersionE0EEEDF16_DF16_NS2_IJPKDF16_EEEDF16_SW_SW_NS2_IJNS4_INS2_IJSA_SC_SC_NSD_INS2_IJiNS7_IiLi128EEEEEELb0EEENSD_INS2_IJiNS7_IiLi64EEEEEELb0EEEEEENS2_IJSL_SM_SN_SP_SO_EEENS2_IJSR_SP_SO_SS_NSK_IJLi7ELi8EEEEEEENSK_IJLi5ELi6ELi7ELi8EEEElEEEEES1S_S15_S15_S16_NS_31BlockToCTileMap_M00_N0_M01AdaptILi128ELi64ES11_iEELb1EEEvPKT0_PKT1_T2_PT3_T4_T5_T6_T7_T8_T9_T10_T11_,comdat
.Lfunc_end1:
	.size	_ZN2ck36kernel_gemm_mupltipe_d_wmma_cshuffleINS_26GridwiseGemmMultipleD_WmmaIDF16_DF16_ffNS_5TupleIJDF16_EEEDF16_NS_16TensorDescriptorINS2_IJNS_5EmbedINS2_IJiiEEENS2_IJiNS_17integral_constantIiLi1EEEEEELb0EEENS_8RightPadIiiLb0EEESC_NS_7UnMergeINS2_IJiNS7_IiLi8EEEEEELb0EEENS_11PassThroughIiEEEEENS2_IJNS_8SequenceIJLi0EEEENSK_IJLi1EEEENSK_IJLi2EEEENSK_IJLi4EEEENSK_IJLi3EEEEEEENS2_IJNSK_IJLi1ELi2EEEESP_SO_NSK_IJLi5ELi6EEEENSK_IJLi7EEEEEEENSK_IJLi5ELi7ELi6EEEElEESW_NS2_IJNS4_INS2_IJSA_SC_SC_EEENS2_IJSL_SM_SN_EEENS2_IJSR_SP_SO_EEENSK_IJLi3ELi4EEEElEEEEES11_NS_16tensor_operation12element_wise11PassThroughES15_12AlphaBetaAddLNS_25InMemoryDataOperationEnumE0ELi128ELi64ELi64ELi16ELi16ELi8ELi4ELi2ELi128ENSK_IJLi4ELi32ELi1EEEENSK_IJLi1ELi0ELi2EEEES19_Li2ELi8ELi8ELb0ELb1ELb1ES18_S19_S19_Li2ELi8ELi8ELb0ELb1ELb1ELi1ELi1ENSK_IJLi1ELi32ELi1ELi4EEEELi8ELi2ELNS_13LoopSchedulerE0ELNS_15PipelineVersionE0EEEDF16_DF16_NS2_IJPKDF16_EEEDF16_SW_SW_NS2_IJNS4_INS2_IJSA_SC_SC_NSD_INS2_IJiNS7_IiLi128EEEEEELb0EEENSD_INS2_IJiNS7_IiLi64EEEEEELb0EEEEEENS2_IJSL_SM_SN_SP_SO_EEENS2_IJSR_SP_SO_SS_NSK_IJLi7ELi8EEEEEEENSK_IJLi5ELi6ELi7ELi8EEEElEEEEES1S_S15_S15_S16_NS_31BlockToCTileMap_M00_N0_M01AdaptILi128ELi64ES11_iEELb1EEEvPKT0_PKT1_T2_PT3_T4_T5_T6_T7_T8_T9_T10_T11_, .Lfunc_end1-_ZN2ck36kernel_gemm_mupltipe_d_wmma_cshuffleINS_26GridwiseGemmMultipleD_WmmaIDF16_DF16_ffNS_5TupleIJDF16_EEEDF16_NS_16TensorDescriptorINS2_IJNS_5EmbedINS2_IJiiEEENS2_IJiNS_17integral_constantIiLi1EEEEEELb0EEENS_8RightPadIiiLb0EEESC_NS_7UnMergeINS2_IJiNS7_IiLi8EEEEEELb0EEENS_11PassThroughIiEEEEENS2_IJNS_8SequenceIJLi0EEEENSK_IJLi1EEEENSK_IJLi2EEEENSK_IJLi4EEEENSK_IJLi3EEEEEEENS2_IJNSK_IJLi1ELi2EEEESP_SO_NSK_IJLi5ELi6EEEENSK_IJLi7EEEEEEENSK_IJLi5ELi7ELi6EEEElEESW_NS2_IJNS4_INS2_IJSA_SC_SC_EEENS2_IJSL_SM_SN_EEENS2_IJSR_SP_SO_EEENSK_IJLi3ELi4EEEElEEEEES11_NS_16tensor_operation12element_wise11PassThroughES15_12AlphaBetaAddLNS_25InMemoryDataOperationEnumE0ELi128ELi64ELi64ELi16ELi16ELi8ELi4ELi2ELi128ENSK_IJLi4ELi32ELi1EEEENSK_IJLi1ELi0ELi2EEEES19_Li2ELi8ELi8ELb0ELb1ELb1ES18_S19_S19_Li2ELi8ELi8ELb0ELb1ELb1ELi1ELi1ENSK_IJLi1ELi32ELi1ELi4EEEELi8ELi2ELNS_13LoopSchedulerE0ELNS_15PipelineVersionE0EEEDF16_DF16_NS2_IJPKDF16_EEEDF16_SW_SW_NS2_IJNS4_INS2_IJSA_SC_SC_NSD_INS2_IJiNS7_IiLi128EEEEEELb0EEENSD_INS2_IJiNS7_IiLi64EEEEEELb0EEEEEENS2_IJSL_SM_SN_SP_SO_EEENS2_IJSR_SP_SO_SS_NSK_IJLi7ELi8EEEEEEENSK_IJLi5ELi6ELi7ELi8EEEElEEEEES1S_S15_S15_S16_NS_31BlockToCTileMap_M00_N0_M01AdaptILi128ELi64ES11_iEELb1EEEvPKT0_PKT1_T2_PT3_T4_T5_T6_T7_T8_T9_T10_T11_
                                        ; -- End function
	.set _ZN2ck36kernel_gemm_mupltipe_d_wmma_cshuffleINS_26GridwiseGemmMultipleD_WmmaIDF16_DF16_ffNS_5TupleIJDF16_EEEDF16_NS_16TensorDescriptorINS2_IJNS_5EmbedINS2_IJiiEEENS2_IJiNS_17integral_constantIiLi1EEEEEELb0EEENS_8RightPadIiiLb0EEESC_NS_7UnMergeINS2_IJiNS7_IiLi8EEEEEELb0EEENS_11PassThroughIiEEEEENS2_IJNS_8SequenceIJLi0EEEENSK_IJLi1EEEENSK_IJLi2EEEENSK_IJLi4EEEENSK_IJLi3EEEEEEENS2_IJNSK_IJLi1ELi2EEEESP_SO_NSK_IJLi5ELi6EEEENSK_IJLi7EEEEEEENSK_IJLi5ELi7ELi6EEEElEESW_NS2_IJNS4_INS2_IJSA_SC_SC_EEENS2_IJSL_SM_SN_EEENS2_IJSR_SP_SO_EEENSK_IJLi3ELi4EEEElEEEEES11_NS_16tensor_operation12element_wise11PassThroughES15_12AlphaBetaAddLNS_25InMemoryDataOperationEnumE0ELi128ELi64ELi64ELi16ELi16ELi8ELi4ELi2ELi128ENSK_IJLi4ELi32ELi1EEEENSK_IJLi1ELi0ELi2EEEES19_Li2ELi8ELi8ELb0ELb1ELb1ES18_S19_S19_Li2ELi8ELi8ELb0ELb1ELb1ELi1ELi1ENSK_IJLi1ELi32ELi1ELi4EEEELi8ELi2ELNS_13LoopSchedulerE0ELNS_15PipelineVersionE0EEEDF16_DF16_NS2_IJPKDF16_EEEDF16_SW_SW_NS2_IJNS4_INS2_IJSA_SC_SC_NSD_INS2_IJiNS7_IiLi128EEEEEELb0EEENSD_INS2_IJiNS7_IiLi64EEEEEELb0EEEEEENS2_IJSL_SM_SN_SP_SO_EEENS2_IJSR_SP_SO_SS_NSK_IJLi7ELi8EEEEEEENSK_IJLi5ELi6ELi7ELi8EEEElEEEEES1S_S15_S15_S16_NS_31BlockToCTileMap_M00_N0_M01AdaptILi128ELi64ES11_iEELb1EEEvPKT0_PKT1_T2_PT3_T4_T5_T6_T7_T8_T9_T10_T11_.num_vgpr, 256
	.set _ZN2ck36kernel_gemm_mupltipe_d_wmma_cshuffleINS_26GridwiseGemmMultipleD_WmmaIDF16_DF16_ffNS_5TupleIJDF16_EEEDF16_NS_16TensorDescriptorINS2_IJNS_5EmbedINS2_IJiiEEENS2_IJiNS_17integral_constantIiLi1EEEEEELb0EEENS_8RightPadIiiLb0EEESC_NS_7UnMergeINS2_IJiNS7_IiLi8EEEEEELb0EEENS_11PassThroughIiEEEEENS2_IJNS_8SequenceIJLi0EEEENSK_IJLi1EEEENSK_IJLi2EEEENSK_IJLi4EEEENSK_IJLi3EEEEEEENS2_IJNSK_IJLi1ELi2EEEESP_SO_NSK_IJLi5ELi6EEEENSK_IJLi7EEEEEEENSK_IJLi5ELi7ELi6EEEElEESW_NS2_IJNS4_INS2_IJSA_SC_SC_EEENS2_IJSL_SM_SN_EEENS2_IJSR_SP_SO_EEENSK_IJLi3ELi4EEEElEEEEES11_NS_16tensor_operation12element_wise11PassThroughES15_12AlphaBetaAddLNS_25InMemoryDataOperationEnumE0ELi128ELi64ELi64ELi16ELi16ELi8ELi4ELi2ELi128ENSK_IJLi4ELi32ELi1EEEENSK_IJLi1ELi0ELi2EEEES19_Li2ELi8ELi8ELb0ELb1ELb1ES18_S19_S19_Li2ELi8ELi8ELb0ELb1ELb1ELi1ELi1ENSK_IJLi1ELi32ELi1ELi4EEEELi8ELi2ELNS_13LoopSchedulerE0ELNS_15PipelineVersionE0EEEDF16_DF16_NS2_IJPKDF16_EEEDF16_SW_SW_NS2_IJNS4_INS2_IJSA_SC_SC_NSD_INS2_IJiNS7_IiLi128EEEEEELb0EEENSD_INS2_IJiNS7_IiLi64EEEEEELb0EEEEEENS2_IJSL_SM_SN_SP_SO_EEENS2_IJSR_SP_SO_SS_NSK_IJLi7ELi8EEEEEEENSK_IJLi5ELi6ELi7ELi8EEEElEEEEES1S_S15_S15_S16_NS_31BlockToCTileMap_M00_N0_M01AdaptILi128ELi64ES11_iEELb1EEEvPKT0_PKT1_T2_PT3_T4_T5_T6_T7_T8_T9_T10_T11_.num_agpr, 0
	.set _ZN2ck36kernel_gemm_mupltipe_d_wmma_cshuffleINS_26GridwiseGemmMultipleD_WmmaIDF16_DF16_ffNS_5TupleIJDF16_EEEDF16_NS_16TensorDescriptorINS2_IJNS_5EmbedINS2_IJiiEEENS2_IJiNS_17integral_constantIiLi1EEEEEELb0EEENS_8RightPadIiiLb0EEESC_NS_7UnMergeINS2_IJiNS7_IiLi8EEEEEELb0EEENS_11PassThroughIiEEEEENS2_IJNS_8SequenceIJLi0EEEENSK_IJLi1EEEENSK_IJLi2EEEENSK_IJLi4EEEENSK_IJLi3EEEEEEENS2_IJNSK_IJLi1ELi2EEEESP_SO_NSK_IJLi5ELi6EEEENSK_IJLi7EEEEEEENSK_IJLi5ELi7ELi6EEEElEESW_NS2_IJNS4_INS2_IJSA_SC_SC_EEENS2_IJSL_SM_SN_EEENS2_IJSR_SP_SO_EEENSK_IJLi3ELi4EEEElEEEEES11_NS_16tensor_operation12element_wise11PassThroughES15_12AlphaBetaAddLNS_25InMemoryDataOperationEnumE0ELi128ELi64ELi64ELi16ELi16ELi8ELi4ELi2ELi128ENSK_IJLi4ELi32ELi1EEEENSK_IJLi1ELi0ELi2EEEES19_Li2ELi8ELi8ELb0ELb1ELb1ES18_S19_S19_Li2ELi8ELi8ELb0ELb1ELb1ELi1ELi1ENSK_IJLi1ELi32ELi1ELi4EEEELi8ELi2ELNS_13LoopSchedulerE0ELNS_15PipelineVersionE0EEEDF16_DF16_NS2_IJPKDF16_EEEDF16_SW_SW_NS2_IJNS4_INS2_IJSA_SC_SC_NSD_INS2_IJiNS7_IiLi128EEEEEELb0EEENSD_INS2_IJiNS7_IiLi64EEEEEELb0EEEEEENS2_IJSL_SM_SN_SP_SO_EEENS2_IJSR_SP_SO_SS_NSK_IJLi7ELi8EEEEEEENSK_IJLi5ELi6ELi7ELi8EEEElEEEEES1S_S15_S15_S16_NS_31BlockToCTileMap_M00_N0_M01AdaptILi128ELi64ES11_iEELb1EEEvPKT0_PKT1_T2_PT3_T4_T5_T6_T7_T8_T9_T10_T11_.numbered_sgpr, 85
	.set _ZN2ck36kernel_gemm_mupltipe_d_wmma_cshuffleINS_26GridwiseGemmMultipleD_WmmaIDF16_DF16_ffNS_5TupleIJDF16_EEEDF16_NS_16TensorDescriptorINS2_IJNS_5EmbedINS2_IJiiEEENS2_IJiNS_17integral_constantIiLi1EEEEEELb0EEENS_8RightPadIiiLb0EEESC_NS_7UnMergeINS2_IJiNS7_IiLi8EEEEEELb0EEENS_11PassThroughIiEEEEENS2_IJNS_8SequenceIJLi0EEEENSK_IJLi1EEEENSK_IJLi2EEEENSK_IJLi4EEEENSK_IJLi3EEEEEEENS2_IJNSK_IJLi1ELi2EEEESP_SO_NSK_IJLi5ELi6EEEENSK_IJLi7EEEEEEENSK_IJLi5ELi7ELi6EEEElEESW_NS2_IJNS4_INS2_IJSA_SC_SC_EEENS2_IJSL_SM_SN_EEENS2_IJSR_SP_SO_EEENSK_IJLi3ELi4EEEElEEEEES11_NS_16tensor_operation12element_wise11PassThroughES15_12AlphaBetaAddLNS_25InMemoryDataOperationEnumE0ELi128ELi64ELi64ELi16ELi16ELi8ELi4ELi2ELi128ENSK_IJLi4ELi32ELi1EEEENSK_IJLi1ELi0ELi2EEEES19_Li2ELi8ELi8ELb0ELb1ELb1ES18_S19_S19_Li2ELi8ELi8ELb0ELb1ELb1ELi1ELi1ENSK_IJLi1ELi32ELi1ELi4EEEELi8ELi2ELNS_13LoopSchedulerE0ELNS_15PipelineVersionE0EEEDF16_DF16_NS2_IJPKDF16_EEEDF16_SW_SW_NS2_IJNS4_INS2_IJSA_SC_SC_NSD_INS2_IJiNS7_IiLi128EEEEEELb0EEENSD_INS2_IJiNS7_IiLi64EEEEEELb0EEEEEENS2_IJSL_SM_SN_SP_SO_EEENS2_IJSR_SP_SO_SS_NSK_IJLi7ELi8EEEEEEENSK_IJLi5ELi6ELi7ELi8EEEElEEEEES1S_S15_S15_S16_NS_31BlockToCTileMap_M00_N0_M01AdaptILi128ELi64ES11_iEELb1EEEvPKT0_PKT1_T2_PT3_T4_T5_T6_T7_T8_T9_T10_T11_.num_named_barrier, 0
	.set _ZN2ck36kernel_gemm_mupltipe_d_wmma_cshuffleINS_26GridwiseGemmMultipleD_WmmaIDF16_DF16_ffNS_5TupleIJDF16_EEEDF16_NS_16TensorDescriptorINS2_IJNS_5EmbedINS2_IJiiEEENS2_IJiNS_17integral_constantIiLi1EEEEEELb0EEENS_8RightPadIiiLb0EEESC_NS_7UnMergeINS2_IJiNS7_IiLi8EEEEEELb0EEENS_11PassThroughIiEEEEENS2_IJNS_8SequenceIJLi0EEEENSK_IJLi1EEEENSK_IJLi2EEEENSK_IJLi4EEEENSK_IJLi3EEEEEEENS2_IJNSK_IJLi1ELi2EEEESP_SO_NSK_IJLi5ELi6EEEENSK_IJLi7EEEEEEENSK_IJLi5ELi7ELi6EEEElEESW_NS2_IJNS4_INS2_IJSA_SC_SC_EEENS2_IJSL_SM_SN_EEENS2_IJSR_SP_SO_EEENSK_IJLi3ELi4EEEElEEEEES11_NS_16tensor_operation12element_wise11PassThroughES15_12AlphaBetaAddLNS_25InMemoryDataOperationEnumE0ELi128ELi64ELi64ELi16ELi16ELi8ELi4ELi2ELi128ENSK_IJLi4ELi32ELi1EEEENSK_IJLi1ELi0ELi2EEEES19_Li2ELi8ELi8ELb0ELb1ELb1ES18_S19_S19_Li2ELi8ELi8ELb0ELb1ELb1ELi1ELi1ENSK_IJLi1ELi32ELi1ELi4EEEELi8ELi2ELNS_13LoopSchedulerE0ELNS_15PipelineVersionE0EEEDF16_DF16_NS2_IJPKDF16_EEEDF16_SW_SW_NS2_IJNS4_INS2_IJSA_SC_SC_NSD_INS2_IJiNS7_IiLi128EEEEEELb0EEENSD_INS2_IJiNS7_IiLi64EEEEEELb0EEEEEENS2_IJSL_SM_SN_SP_SO_EEENS2_IJSR_SP_SO_SS_NSK_IJLi7ELi8EEEEEEENSK_IJLi5ELi6ELi7ELi8EEEElEEEEES1S_S15_S15_S16_NS_31BlockToCTileMap_M00_N0_M01AdaptILi128ELi64ES11_iEELb1EEEvPKT0_PKT1_T2_PT3_T4_T5_T6_T7_T8_T9_T10_T11_.private_seg_size, 36
	.set _ZN2ck36kernel_gemm_mupltipe_d_wmma_cshuffleINS_26GridwiseGemmMultipleD_WmmaIDF16_DF16_ffNS_5TupleIJDF16_EEEDF16_NS_16TensorDescriptorINS2_IJNS_5EmbedINS2_IJiiEEENS2_IJiNS_17integral_constantIiLi1EEEEEELb0EEENS_8RightPadIiiLb0EEESC_NS_7UnMergeINS2_IJiNS7_IiLi8EEEEEELb0EEENS_11PassThroughIiEEEEENS2_IJNS_8SequenceIJLi0EEEENSK_IJLi1EEEENSK_IJLi2EEEENSK_IJLi4EEEENSK_IJLi3EEEEEEENS2_IJNSK_IJLi1ELi2EEEESP_SO_NSK_IJLi5ELi6EEEENSK_IJLi7EEEEEEENSK_IJLi5ELi7ELi6EEEElEESW_NS2_IJNS4_INS2_IJSA_SC_SC_EEENS2_IJSL_SM_SN_EEENS2_IJSR_SP_SO_EEENSK_IJLi3ELi4EEEElEEEEES11_NS_16tensor_operation12element_wise11PassThroughES15_12AlphaBetaAddLNS_25InMemoryDataOperationEnumE0ELi128ELi64ELi64ELi16ELi16ELi8ELi4ELi2ELi128ENSK_IJLi4ELi32ELi1EEEENSK_IJLi1ELi0ELi2EEEES19_Li2ELi8ELi8ELb0ELb1ELb1ES18_S19_S19_Li2ELi8ELi8ELb0ELb1ELb1ELi1ELi1ENSK_IJLi1ELi32ELi1ELi4EEEELi8ELi2ELNS_13LoopSchedulerE0ELNS_15PipelineVersionE0EEEDF16_DF16_NS2_IJPKDF16_EEEDF16_SW_SW_NS2_IJNS4_INS2_IJSA_SC_SC_NSD_INS2_IJiNS7_IiLi128EEEEEELb0EEENSD_INS2_IJiNS7_IiLi64EEEEEELb0EEEEEENS2_IJSL_SM_SN_SP_SO_EEENS2_IJSR_SP_SO_SS_NSK_IJLi7ELi8EEEEEEENSK_IJLi5ELi6ELi7ELi8EEEElEEEEES1S_S15_S15_S16_NS_31BlockToCTileMap_M00_N0_M01AdaptILi128ELi64ES11_iEELb1EEEvPKT0_PKT1_T2_PT3_T4_T5_T6_T7_T8_T9_T10_T11_.uses_vcc, 1
	.set _ZN2ck36kernel_gemm_mupltipe_d_wmma_cshuffleINS_26GridwiseGemmMultipleD_WmmaIDF16_DF16_ffNS_5TupleIJDF16_EEEDF16_NS_16TensorDescriptorINS2_IJNS_5EmbedINS2_IJiiEEENS2_IJiNS_17integral_constantIiLi1EEEEEELb0EEENS_8RightPadIiiLb0EEESC_NS_7UnMergeINS2_IJiNS7_IiLi8EEEEEELb0EEENS_11PassThroughIiEEEEENS2_IJNS_8SequenceIJLi0EEEENSK_IJLi1EEEENSK_IJLi2EEEENSK_IJLi4EEEENSK_IJLi3EEEEEEENS2_IJNSK_IJLi1ELi2EEEESP_SO_NSK_IJLi5ELi6EEEENSK_IJLi7EEEEEEENSK_IJLi5ELi7ELi6EEEElEESW_NS2_IJNS4_INS2_IJSA_SC_SC_EEENS2_IJSL_SM_SN_EEENS2_IJSR_SP_SO_EEENSK_IJLi3ELi4EEEElEEEEES11_NS_16tensor_operation12element_wise11PassThroughES15_12AlphaBetaAddLNS_25InMemoryDataOperationEnumE0ELi128ELi64ELi64ELi16ELi16ELi8ELi4ELi2ELi128ENSK_IJLi4ELi32ELi1EEEENSK_IJLi1ELi0ELi2EEEES19_Li2ELi8ELi8ELb0ELb1ELb1ES18_S19_S19_Li2ELi8ELi8ELb0ELb1ELb1ELi1ELi1ENSK_IJLi1ELi32ELi1ELi4EEEELi8ELi2ELNS_13LoopSchedulerE0ELNS_15PipelineVersionE0EEEDF16_DF16_NS2_IJPKDF16_EEEDF16_SW_SW_NS2_IJNS4_INS2_IJSA_SC_SC_NSD_INS2_IJiNS7_IiLi128EEEEEELb0EEENSD_INS2_IJiNS7_IiLi64EEEEEELb0EEEEEENS2_IJSL_SM_SN_SP_SO_EEENS2_IJSR_SP_SO_SS_NSK_IJLi7ELi8EEEEEEENSK_IJLi5ELi6ELi7ELi8EEEElEEEEES1S_S15_S15_S16_NS_31BlockToCTileMap_M00_N0_M01AdaptILi128ELi64ES11_iEELb1EEEvPKT0_PKT1_T2_PT3_T4_T5_T6_T7_T8_T9_T10_T11_.uses_flat_scratch, 0
	.set _ZN2ck36kernel_gemm_mupltipe_d_wmma_cshuffleINS_26GridwiseGemmMultipleD_WmmaIDF16_DF16_ffNS_5TupleIJDF16_EEEDF16_NS_16TensorDescriptorINS2_IJNS_5EmbedINS2_IJiiEEENS2_IJiNS_17integral_constantIiLi1EEEEEELb0EEENS_8RightPadIiiLb0EEESC_NS_7UnMergeINS2_IJiNS7_IiLi8EEEEEELb0EEENS_11PassThroughIiEEEEENS2_IJNS_8SequenceIJLi0EEEENSK_IJLi1EEEENSK_IJLi2EEEENSK_IJLi4EEEENSK_IJLi3EEEEEEENS2_IJNSK_IJLi1ELi2EEEESP_SO_NSK_IJLi5ELi6EEEENSK_IJLi7EEEEEEENSK_IJLi5ELi7ELi6EEEElEESW_NS2_IJNS4_INS2_IJSA_SC_SC_EEENS2_IJSL_SM_SN_EEENS2_IJSR_SP_SO_EEENSK_IJLi3ELi4EEEElEEEEES11_NS_16tensor_operation12element_wise11PassThroughES15_12AlphaBetaAddLNS_25InMemoryDataOperationEnumE0ELi128ELi64ELi64ELi16ELi16ELi8ELi4ELi2ELi128ENSK_IJLi4ELi32ELi1EEEENSK_IJLi1ELi0ELi2EEEES19_Li2ELi8ELi8ELb0ELb1ELb1ES18_S19_S19_Li2ELi8ELi8ELb0ELb1ELb1ELi1ELi1ENSK_IJLi1ELi32ELi1ELi4EEEELi8ELi2ELNS_13LoopSchedulerE0ELNS_15PipelineVersionE0EEEDF16_DF16_NS2_IJPKDF16_EEEDF16_SW_SW_NS2_IJNS4_INS2_IJSA_SC_SC_NSD_INS2_IJiNS7_IiLi128EEEEEELb0EEENSD_INS2_IJiNS7_IiLi64EEEEEELb0EEEEEENS2_IJSL_SM_SN_SP_SO_EEENS2_IJSR_SP_SO_SS_NSK_IJLi7ELi8EEEEEEENSK_IJLi5ELi6ELi7ELi8EEEElEEEEES1S_S15_S15_S16_NS_31BlockToCTileMap_M00_N0_M01AdaptILi128ELi64ES11_iEELb1EEEvPKT0_PKT1_T2_PT3_T4_T5_T6_T7_T8_T9_T10_T11_.has_dyn_sized_stack, 0
	.set _ZN2ck36kernel_gemm_mupltipe_d_wmma_cshuffleINS_26GridwiseGemmMultipleD_WmmaIDF16_DF16_ffNS_5TupleIJDF16_EEEDF16_NS_16TensorDescriptorINS2_IJNS_5EmbedINS2_IJiiEEENS2_IJiNS_17integral_constantIiLi1EEEEEELb0EEENS_8RightPadIiiLb0EEESC_NS_7UnMergeINS2_IJiNS7_IiLi8EEEEEELb0EEENS_11PassThroughIiEEEEENS2_IJNS_8SequenceIJLi0EEEENSK_IJLi1EEEENSK_IJLi2EEEENSK_IJLi4EEEENSK_IJLi3EEEEEEENS2_IJNSK_IJLi1ELi2EEEESP_SO_NSK_IJLi5ELi6EEEENSK_IJLi7EEEEEEENSK_IJLi5ELi7ELi6EEEElEESW_NS2_IJNS4_INS2_IJSA_SC_SC_EEENS2_IJSL_SM_SN_EEENS2_IJSR_SP_SO_EEENSK_IJLi3ELi4EEEElEEEEES11_NS_16tensor_operation12element_wise11PassThroughES15_12AlphaBetaAddLNS_25InMemoryDataOperationEnumE0ELi128ELi64ELi64ELi16ELi16ELi8ELi4ELi2ELi128ENSK_IJLi4ELi32ELi1EEEENSK_IJLi1ELi0ELi2EEEES19_Li2ELi8ELi8ELb0ELb1ELb1ES18_S19_S19_Li2ELi8ELi8ELb0ELb1ELb1ELi1ELi1ENSK_IJLi1ELi32ELi1ELi4EEEELi8ELi2ELNS_13LoopSchedulerE0ELNS_15PipelineVersionE0EEEDF16_DF16_NS2_IJPKDF16_EEEDF16_SW_SW_NS2_IJNS4_INS2_IJSA_SC_SC_NSD_INS2_IJiNS7_IiLi128EEEEEELb0EEENSD_INS2_IJiNS7_IiLi64EEEEEELb0EEEEEENS2_IJSL_SM_SN_SP_SO_EEENS2_IJSR_SP_SO_SS_NSK_IJLi7ELi8EEEEEEENSK_IJLi5ELi6ELi7ELi8EEEElEEEEES1S_S15_S15_S16_NS_31BlockToCTileMap_M00_N0_M01AdaptILi128ELi64ES11_iEELb1EEEvPKT0_PKT1_T2_PT3_T4_T5_T6_T7_T8_T9_T10_T11_.has_recursion, 0
	.set _ZN2ck36kernel_gemm_mupltipe_d_wmma_cshuffleINS_26GridwiseGemmMultipleD_WmmaIDF16_DF16_ffNS_5TupleIJDF16_EEEDF16_NS_16TensorDescriptorINS2_IJNS_5EmbedINS2_IJiiEEENS2_IJiNS_17integral_constantIiLi1EEEEEELb0EEENS_8RightPadIiiLb0EEESC_NS_7UnMergeINS2_IJiNS7_IiLi8EEEEEELb0EEENS_11PassThroughIiEEEEENS2_IJNS_8SequenceIJLi0EEEENSK_IJLi1EEEENSK_IJLi2EEEENSK_IJLi4EEEENSK_IJLi3EEEEEEENS2_IJNSK_IJLi1ELi2EEEESP_SO_NSK_IJLi5ELi6EEEENSK_IJLi7EEEEEEENSK_IJLi5ELi7ELi6EEEElEESW_NS2_IJNS4_INS2_IJSA_SC_SC_EEENS2_IJSL_SM_SN_EEENS2_IJSR_SP_SO_EEENSK_IJLi3ELi4EEEElEEEEES11_NS_16tensor_operation12element_wise11PassThroughES15_12AlphaBetaAddLNS_25InMemoryDataOperationEnumE0ELi128ELi64ELi64ELi16ELi16ELi8ELi4ELi2ELi128ENSK_IJLi4ELi32ELi1EEEENSK_IJLi1ELi0ELi2EEEES19_Li2ELi8ELi8ELb0ELb1ELb1ES18_S19_S19_Li2ELi8ELi8ELb0ELb1ELb1ELi1ELi1ENSK_IJLi1ELi32ELi1ELi4EEEELi8ELi2ELNS_13LoopSchedulerE0ELNS_15PipelineVersionE0EEEDF16_DF16_NS2_IJPKDF16_EEEDF16_SW_SW_NS2_IJNS4_INS2_IJSA_SC_SC_NSD_INS2_IJiNS7_IiLi128EEEEEELb0EEENSD_INS2_IJiNS7_IiLi64EEEEEELb0EEEEEENS2_IJSL_SM_SN_SP_SO_EEENS2_IJSR_SP_SO_SS_NSK_IJLi7ELi8EEEEEEENSK_IJLi5ELi6ELi7ELi8EEEElEEEEES1S_S15_S15_S16_NS_31BlockToCTileMap_M00_N0_M01AdaptILi128ELi64ES11_iEELb1EEEvPKT0_PKT1_T2_PT3_T4_T5_T6_T7_T8_T9_T10_T11_.has_indirect_call, 0
	.section	.AMDGPU.csdata,"",@progbits
; Kernel info:
; codeLenInByte = 10500
; TotalNumSgprs: 87
; NumVgprs: 256
; ScratchSize: 36
; MemoryBound: 0
; FloatMode: 240
; IeeeMode: 1
; LDSByteSize: 24800 bytes/workgroup (compile time only)
; SGPRBlocks: 0
; VGPRBlocks: 31
; NumSGPRsForWavesPerEU: 87
; NumVGPRsForWavesPerEU: 256
; Occupancy: 5
; WaveLimiterHint : 0
; COMPUTE_PGM_RSRC2:SCRATCH_EN: 1
; COMPUTE_PGM_RSRC2:USER_SGPR: 2
; COMPUTE_PGM_RSRC2:TRAP_HANDLER: 0
; COMPUTE_PGM_RSRC2:TGID_X_EN: 1
; COMPUTE_PGM_RSRC2:TGID_Y_EN: 0
; COMPUTE_PGM_RSRC2:TGID_Z_EN: 0
; COMPUTE_PGM_RSRC2:TIDIG_COMP_CNT: 0
	.section	.text._ZN2ck36kernel_gemm_mupltipe_d_wmma_cshuffleINS_26GridwiseGemmMultipleD_WmmaIDF16_DF16_ffNS_5TupleIJDF16_EEEDF16_NS_16TensorDescriptorINS2_IJNS_5EmbedINS2_IJiiEEENS2_IJiNS_17integral_constantIiLi1EEEEEELb0EEENS_8RightPadIiiLb0EEESC_NS_7UnMergeINS2_IJiNS7_IiLi8EEEEEELb0EEENS_11PassThroughIiEEEEENS2_IJNS_8SequenceIJLi0EEEENSK_IJLi1EEEENSK_IJLi2EEEENSK_IJLi4EEEENSK_IJLi3EEEEEEENS2_IJNSK_IJLi1ELi2EEEESP_SO_NSK_IJLi5ELi6EEEENSK_IJLi7EEEEEEENSK_IJLi5ELi7ELi6EEEElEESW_NS2_IJNS4_INS2_IJSA_SC_SC_EEENS2_IJSL_SM_SN_EEENS2_IJSR_SP_SO_EEENSK_IJLi3ELi4EEEElEEEEES11_NS_16tensor_operation12element_wise11PassThroughES15_12AlphaBetaAddLNS_25InMemoryDataOperationEnumE0ELi128ELi64ELi64ELi16ELi16ELi8ELi4ELi2ELi128ENSK_IJLi4ELi32ELi1EEEENSK_IJLi1ELi0ELi2EEEES19_Li2ELi8ELi8ELb0ELb1ELb1ES18_S19_S19_Li2ELi8ELi8ELb0ELb1ELb1ELi1ELi1ENSK_IJLi1ELi32ELi1ELi4EEEELi8ELi2ELNS_13LoopSchedulerE0ELNS_15PipelineVersionE0EEEDF16_DF16_NS2_IJPKDF16_EEEDF16_SW_SW_NS2_IJNS4_INS2_IJSA_SC_SC_NSD_INS2_IJiNS7_IiLi128EEEEEELb0EEENSD_INS2_IJiNS7_IiLi64EEEEEELb0EEEEEENS2_IJSL_SM_SN_SP_SO_EEENS2_IJSR_SP_SO_SS_NSK_IJLi7ELi8EEEEEEENSK_IJLi5ELi6ELi7ELi8EEEElEEEEES1S_S15_S15_S16_NS_31BlockToCTileMap_M00_N0_M01AdaptILi128ELi64ES11_iEELb0EEEvPKT0_PKT1_T2_PT3_T4_T5_T6_T7_T8_T9_T10_T11_,"axG",@progbits,_ZN2ck36kernel_gemm_mupltipe_d_wmma_cshuffleINS_26GridwiseGemmMultipleD_WmmaIDF16_DF16_ffNS_5TupleIJDF16_EEEDF16_NS_16TensorDescriptorINS2_IJNS_5EmbedINS2_IJiiEEENS2_IJiNS_17integral_constantIiLi1EEEEEELb0EEENS_8RightPadIiiLb0EEESC_NS_7UnMergeINS2_IJiNS7_IiLi8EEEEEELb0EEENS_11PassThroughIiEEEEENS2_IJNS_8SequenceIJLi0EEEENSK_IJLi1EEEENSK_IJLi2EEEENSK_IJLi4EEEENSK_IJLi3EEEEEEENS2_IJNSK_IJLi1ELi2EEEESP_SO_NSK_IJLi5ELi6EEEENSK_IJLi7EEEEEEENSK_IJLi5ELi7ELi6EEEElEESW_NS2_IJNS4_INS2_IJSA_SC_SC_EEENS2_IJSL_SM_SN_EEENS2_IJSR_SP_SO_EEENSK_IJLi3ELi4EEEElEEEEES11_NS_16tensor_operation12element_wise11PassThroughES15_12AlphaBetaAddLNS_25InMemoryDataOperationEnumE0ELi128ELi64ELi64ELi16ELi16ELi8ELi4ELi2ELi128ENSK_IJLi4ELi32ELi1EEEENSK_IJLi1ELi0ELi2EEEES19_Li2ELi8ELi8ELb0ELb1ELb1ES18_S19_S19_Li2ELi8ELi8ELb0ELb1ELb1ELi1ELi1ENSK_IJLi1ELi32ELi1ELi4EEEELi8ELi2ELNS_13LoopSchedulerE0ELNS_15PipelineVersionE0EEEDF16_DF16_NS2_IJPKDF16_EEEDF16_SW_SW_NS2_IJNS4_INS2_IJSA_SC_SC_NSD_INS2_IJiNS7_IiLi128EEEEEELb0EEENSD_INS2_IJiNS7_IiLi64EEEEEELb0EEEEEENS2_IJSL_SM_SN_SP_SO_EEENS2_IJSR_SP_SO_SS_NSK_IJLi7ELi8EEEEEEENSK_IJLi5ELi6ELi7ELi8EEEElEEEEES1S_S15_S15_S16_NS_31BlockToCTileMap_M00_N0_M01AdaptILi128ELi64ES11_iEELb0EEEvPKT0_PKT1_T2_PT3_T4_T5_T6_T7_T8_T9_T10_T11_,comdat
	.protected	_ZN2ck36kernel_gemm_mupltipe_d_wmma_cshuffleINS_26GridwiseGemmMultipleD_WmmaIDF16_DF16_ffNS_5TupleIJDF16_EEEDF16_NS_16TensorDescriptorINS2_IJNS_5EmbedINS2_IJiiEEENS2_IJiNS_17integral_constantIiLi1EEEEEELb0EEENS_8RightPadIiiLb0EEESC_NS_7UnMergeINS2_IJiNS7_IiLi8EEEEEELb0EEENS_11PassThroughIiEEEEENS2_IJNS_8SequenceIJLi0EEEENSK_IJLi1EEEENSK_IJLi2EEEENSK_IJLi4EEEENSK_IJLi3EEEEEEENS2_IJNSK_IJLi1ELi2EEEESP_SO_NSK_IJLi5ELi6EEEENSK_IJLi7EEEEEEENSK_IJLi5ELi7ELi6EEEElEESW_NS2_IJNS4_INS2_IJSA_SC_SC_EEENS2_IJSL_SM_SN_EEENS2_IJSR_SP_SO_EEENSK_IJLi3ELi4EEEElEEEEES11_NS_16tensor_operation12element_wise11PassThroughES15_12AlphaBetaAddLNS_25InMemoryDataOperationEnumE0ELi128ELi64ELi64ELi16ELi16ELi8ELi4ELi2ELi128ENSK_IJLi4ELi32ELi1EEEENSK_IJLi1ELi0ELi2EEEES19_Li2ELi8ELi8ELb0ELb1ELb1ES18_S19_S19_Li2ELi8ELi8ELb0ELb1ELb1ELi1ELi1ENSK_IJLi1ELi32ELi1ELi4EEEELi8ELi2ELNS_13LoopSchedulerE0ELNS_15PipelineVersionE0EEEDF16_DF16_NS2_IJPKDF16_EEEDF16_SW_SW_NS2_IJNS4_INS2_IJSA_SC_SC_NSD_INS2_IJiNS7_IiLi128EEEEEELb0EEENSD_INS2_IJiNS7_IiLi64EEEEEELb0EEEEEENS2_IJSL_SM_SN_SP_SO_EEENS2_IJSR_SP_SO_SS_NSK_IJLi7ELi8EEEEEEENSK_IJLi5ELi6ELi7ELi8EEEElEEEEES1S_S15_S15_S16_NS_31BlockToCTileMap_M00_N0_M01AdaptILi128ELi64ES11_iEELb0EEEvPKT0_PKT1_T2_PT3_T4_T5_T6_T7_T8_T9_T10_T11_ ; -- Begin function _ZN2ck36kernel_gemm_mupltipe_d_wmma_cshuffleINS_26GridwiseGemmMultipleD_WmmaIDF16_DF16_ffNS_5TupleIJDF16_EEEDF16_NS_16TensorDescriptorINS2_IJNS_5EmbedINS2_IJiiEEENS2_IJiNS_17integral_constantIiLi1EEEEEELb0EEENS_8RightPadIiiLb0EEESC_NS_7UnMergeINS2_IJiNS7_IiLi8EEEEEELb0EEENS_11PassThroughIiEEEEENS2_IJNS_8SequenceIJLi0EEEENSK_IJLi1EEEENSK_IJLi2EEEENSK_IJLi4EEEENSK_IJLi3EEEEEEENS2_IJNSK_IJLi1ELi2EEEESP_SO_NSK_IJLi5ELi6EEEENSK_IJLi7EEEEEEENSK_IJLi5ELi7ELi6EEEElEESW_NS2_IJNS4_INS2_IJSA_SC_SC_EEENS2_IJSL_SM_SN_EEENS2_IJSR_SP_SO_EEENSK_IJLi3ELi4EEEElEEEEES11_NS_16tensor_operation12element_wise11PassThroughES15_12AlphaBetaAddLNS_25InMemoryDataOperationEnumE0ELi128ELi64ELi64ELi16ELi16ELi8ELi4ELi2ELi128ENSK_IJLi4ELi32ELi1EEEENSK_IJLi1ELi0ELi2EEEES19_Li2ELi8ELi8ELb0ELb1ELb1ES18_S19_S19_Li2ELi8ELi8ELb0ELb1ELb1ELi1ELi1ENSK_IJLi1ELi32ELi1ELi4EEEELi8ELi2ELNS_13LoopSchedulerE0ELNS_15PipelineVersionE0EEEDF16_DF16_NS2_IJPKDF16_EEEDF16_SW_SW_NS2_IJNS4_INS2_IJSA_SC_SC_NSD_INS2_IJiNS7_IiLi128EEEEEELb0EEENSD_INS2_IJiNS7_IiLi64EEEEEELb0EEEEEENS2_IJSL_SM_SN_SP_SO_EEENS2_IJSR_SP_SO_SS_NSK_IJLi7ELi8EEEEEEENSK_IJLi5ELi6ELi7ELi8EEEElEEEEES1S_S15_S15_S16_NS_31BlockToCTileMap_M00_N0_M01AdaptILi128ELi64ES11_iEELb0EEEvPKT0_PKT1_T2_PT3_T4_T5_T6_T7_T8_T9_T10_T11_
	.globl	_ZN2ck36kernel_gemm_mupltipe_d_wmma_cshuffleINS_26GridwiseGemmMultipleD_WmmaIDF16_DF16_ffNS_5TupleIJDF16_EEEDF16_NS_16TensorDescriptorINS2_IJNS_5EmbedINS2_IJiiEEENS2_IJiNS_17integral_constantIiLi1EEEEEELb0EEENS_8RightPadIiiLb0EEESC_NS_7UnMergeINS2_IJiNS7_IiLi8EEEEEELb0EEENS_11PassThroughIiEEEEENS2_IJNS_8SequenceIJLi0EEEENSK_IJLi1EEEENSK_IJLi2EEEENSK_IJLi4EEEENSK_IJLi3EEEEEEENS2_IJNSK_IJLi1ELi2EEEESP_SO_NSK_IJLi5ELi6EEEENSK_IJLi7EEEEEEENSK_IJLi5ELi7ELi6EEEElEESW_NS2_IJNS4_INS2_IJSA_SC_SC_EEENS2_IJSL_SM_SN_EEENS2_IJSR_SP_SO_EEENSK_IJLi3ELi4EEEElEEEEES11_NS_16tensor_operation12element_wise11PassThroughES15_12AlphaBetaAddLNS_25InMemoryDataOperationEnumE0ELi128ELi64ELi64ELi16ELi16ELi8ELi4ELi2ELi128ENSK_IJLi4ELi32ELi1EEEENSK_IJLi1ELi0ELi2EEEES19_Li2ELi8ELi8ELb0ELb1ELb1ES18_S19_S19_Li2ELi8ELi8ELb0ELb1ELb1ELi1ELi1ENSK_IJLi1ELi32ELi1ELi4EEEELi8ELi2ELNS_13LoopSchedulerE0ELNS_15PipelineVersionE0EEEDF16_DF16_NS2_IJPKDF16_EEEDF16_SW_SW_NS2_IJNS4_INS2_IJSA_SC_SC_NSD_INS2_IJiNS7_IiLi128EEEEEELb0EEENSD_INS2_IJiNS7_IiLi64EEEEEELb0EEEEEENS2_IJSL_SM_SN_SP_SO_EEENS2_IJSR_SP_SO_SS_NSK_IJLi7ELi8EEEEEEENSK_IJLi5ELi6ELi7ELi8EEEElEEEEES1S_S15_S15_S16_NS_31BlockToCTileMap_M00_N0_M01AdaptILi128ELi64ES11_iEELb0EEEvPKT0_PKT1_T2_PT3_T4_T5_T6_T7_T8_T9_T10_T11_
	.p2align	8
	.type	_ZN2ck36kernel_gemm_mupltipe_d_wmma_cshuffleINS_26GridwiseGemmMultipleD_WmmaIDF16_DF16_ffNS_5TupleIJDF16_EEEDF16_NS_16TensorDescriptorINS2_IJNS_5EmbedINS2_IJiiEEENS2_IJiNS_17integral_constantIiLi1EEEEEELb0EEENS_8RightPadIiiLb0EEESC_NS_7UnMergeINS2_IJiNS7_IiLi8EEEEEELb0EEENS_11PassThroughIiEEEEENS2_IJNS_8SequenceIJLi0EEEENSK_IJLi1EEEENSK_IJLi2EEEENSK_IJLi4EEEENSK_IJLi3EEEEEEENS2_IJNSK_IJLi1ELi2EEEESP_SO_NSK_IJLi5ELi6EEEENSK_IJLi7EEEEEEENSK_IJLi5ELi7ELi6EEEElEESW_NS2_IJNS4_INS2_IJSA_SC_SC_EEENS2_IJSL_SM_SN_EEENS2_IJSR_SP_SO_EEENSK_IJLi3ELi4EEEElEEEEES11_NS_16tensor_operation12element_wise11PassThroughES15_12AlphaBetaAddLNS_25InMemoryDataOperationEnumE0ELi128ELi64ELi64ELi16ELi16ELi8ELi4ELi2ELi128ENSK_IJLi4ELi32ELi1EEEENSK_IJLi1ELi0ELi2EEEES19_Li2ELi8ELi8ELb0ELb1ELb1ES18_S19_S19_Li2ELi8ELi8ELb0ELb1ELb1ELi1ELi1ENSK_IJLi1ELi32ELi1ELi4EEEELi8ELi2ELNS_13LoopSchedulerE0ELNS_15PipelineVersionE0EEEDF16_DF16_NS2_IJPKDF16_EEEDF16_SW_SW_NS2_IJNS4_INS2_IJSA_SC_SC_NSD_INS2_IJiNS7_IiLi128EEEEEELb0EEENSD_INS2_IJiNS7_IiLi64EEEEEELb0EEEEEENS2_IJSL_SM_SN_SP_SO_EEENS2_IJSR_SP_SO_SS_NSK_IJLi7ELi8EEEEEEENSK_IJLi5ELi6ELi7ELi8EEEElEEEEES1S_S15_S15_S16_NS_31BlockToCTileMap_M00_N0_M01AdaptILi128ELi64ES11_iEELb0EEEvPKT0_PKT1_T2_PT3_T4_T5_T6_T7_T8_T9_T10_T11_,@function
_ZN2ck36kernel_gemm_mupltipe_d_wmma_cshuffleINS_26GridwiseGemmMultipleD_WmmaIDF16_DF16_ffNS_5TupleIJDF16_EEEDF16_NS_16TensorDescriptorINS2_IJNS_5EmbedINS2_IJiiEEENS2_IJiNS_17integral_constantIiLi1EEEEEELb0EEENS_8RightPadIiiLb0EEESC_NS_7UnMergeINS2_IJiNS7_IiLi8EEEEEELb0EEENS_11PassThroughIiEEEEENS2_IJNS_8SequenceIJLi0EEEENSK_IJLi1EEEENSK_IJLi2EEEENSK_IJLi4EEEENSK_IJLi3EEEEEEENS2_IJNSK_IJLi1ELi2EEEESP_SO_NSK_IJLi5ELi6EEEENSK_IJLi7EEEEEEENSK_IJLi5ELi7ELi6EEEElEESW_NS2_IJNS4_INS2_IJSA_SC_SC_EEENS2_IJSL_SM_SN_EEENS2_IJSR_SP_SO_EEENSK_IJLi3ELi4EEEElEEEEES11_NS_16tensor_operation12element_wise11PassThroughES15_12AlphaBetaAddLNS_25InMemoryDataOperationEnumE0ELi128ELi64ELi64ELi16ELi16ELi8ELi4ELi2ELi128ENSK_IJLi4ELi32ELi1EEEENSK_IJLi1ELi0ELi2EEEES19_Li2ELi8ELi8ELb0ELb1ELb1ES18_S19_S19_Li2ELi8ELi8ELb0ELb1ELb1ELi1ELi1ENSK_IJLi1ELi32ELi1ELi4EEEELi8ELi2ELNS_13LoopSchedulerE0ELNS_15PipelineVersionE0EEEDF16_DF16_NS2_IJPKDF16_EEEDF16_SW_SW_NS2_IJNS4_INS2_IJSA_SC_SC_NSD_INS2_IJiNS7_IiLi128EEEEEELb0EEENSD_INS2_IJiNS7_IiLi64EEEEEELb0EEEEEENS2_IJSL_SM_SN_SP_SO_EEENS2_IJSR_SP_SO_SS_NSK_IJLi7ELi8EEEEEEENSK_IJLi5ELi6ELi7ELi8EEEElEEEEES1S_S15_S15_S16_NS_31BlockToCTileMap_M00_N0_M01AdaptILi128ELi64ES11_iEELb0EEEvPKT0_PKT1_T2_PT3_T4_T5_T6_T7_T8_T9_T10_T11_: ; @_ZN2ck36kernel_gemm_mupltipe_d_wmma_cshuffleINS_26GridwiseGemmMultipleD_WmmaIDF16_DF16_ffNS_5TupleIJDF16_EEEDF16_NS_16TensorDescriptorINS2_IJNS_5EmbedINS2_IJiiEEENS2_IJiNS_17integral_constantIiLi1EEEEEELb0EEENS_8RightPadIiiLb0EEESC_NS_7UnMergeINS2_IJiNS7_IiLi8EEEEEELb0EEENS_11PassThroughIiEEEEENS2_IJNS_8SequenceIJLi0EEEENSK_IJLi1EEEENSK_IJLi2EEEENSK_IJLi4EEEENSK_IJLi3EEEEEEENS2_IJNSK_IJLi1ELi2EEEESP_SO_NSK_IJLi5ELi6EEEENSK_IJLi7EEEEEEENSK_IJLi5ELi7ELi6EEEElEESW_NS2_IJNS4_INS2_IJSA_SC_SC_EEENS2_IJSL_SM_SN_EEENS2_IJSR_SP_SO_EEENSK_IJLi3ELi4EEEElEEEEES11_NS_16tensor_operation12element_wise11PassThroughES15_12AlphaBetaAddLNS_25InMemoryDataOperationEnumE0ELi128ELi64ELi64ELi16ELi16ELi8ELi4ELi2ELi128ENSK_IJLi4ELi32ELi1EEEENSK_IJLi1ELi0ELi2EEEES19_Li2ELi8ELi8ELb0ELb1ELb1ES18_S19_S19_Li2ELi8ELi8ELb0ELb1ELb1ELi1ELi1ENSK_IJLi1ELi32ELi1ELi4EEEELi8ELi2ELNS_13LoopSchedulerE0ELNS_15PipelineVersionE0EEEDF16_DF16_NS2_IJPKDF16_EEEDF16_SW_SW_NS2_IJNS4_INS2_IJSA_SC_SC_NSD_INS2_IJiNS7_IiLi128EEEEEELb0EEENSD_INS2_IJiNS7_IiLi64EEEEEELb0EEEEEENS2_IJSL_SM_SN_SP_SO_EEENS2_IJSR_SP_SO_SS_NSK_IJLi7ELi8EEEEEEENSK_IJLi5ELi6ELi7ELi8EEEElEEEEES1S_S15_S15_S16_NS_31BlockToCTileMap_M00_N0_M01AdaptILi128ELi64ES11_iEELb0EEEvPKT0_PKT1_T2_PT3_T4_T5_T6_T7_T8_T9_T10_T11_
; %bb.0:
	s_clause 0x1
	s_load_b96 s[4:6], s[0:1], 0x15c
	s_load_b64 s[24:25], s[0:1], 0x154
	s_abs_i32 s9, ttmp9
	v_and_b32_e32 v94, 0xfc, v0
	v_lshrrev_b32_e32 v90, 1, v0
	s_mov_b32 s23, 0x31004000
	v_bfe_u32 v105, v0, 4, 1
	v_lshrrev_b32_e32 v107, 2, v0
	v_bfe_u32 v210, v0, 2, 5
	v_lshrrev_b32_e32 v211, 7, v0
	s_wait_kmcnt 0x0
	s_add_co_i32 s2, s4, 0x7f
	s_add_co_i32 s3, s5, 63
	s_ashr_i32 s4, s2, 31
	s_ashr_i32 s5, s3, 31
	s_lshr_b32 s4, s4, 25
	s_lshr_b32 s5, s5, 26
	s_add_co_i32 s2, s2, s4
	s_add_co_i32 s3, s3, s5
	s_ashr_i32 s4, s2, 7
	s_ashr_i32 s3, s3, 6
	s_delay_alu instid0(SALU_CYCLE_1) | instskip(NEXT) | instid1(SALU_CYCLE_1)
	s_mul_i32 s5, s3, s4
	s_abs_i32 s5, s5
	s_delay_alu instid0(SALU_CYCLE_1) | instskip(SKIP_1) | instid1(SALU_CYCLE_2)
	s_cvt_f32_u32 s7, s5
	s_sub_co_i32 s8, 0, s5
	v_rcp_iflag_f32_e32 v1, s7
	s_delay_alu instid0(TRANS32_DEP_1) | instskip(SKIP_2) | instid1(SALU_CYCLE_2)
	v_readfirstlane_b32 s7, v1
	s_mul_f32 s7, s7, 0x4f7ffffe
	s_wait_alu 0xfffe
	s_cvt_u32_f32 s7, s7
	s_wait_alu 0xfffe
	s_delay_alu instid0(SALU_CYCLE_2) | instskip(NEXT) | instid1(SALU_CYCLE_1)
	s_mul_i32 s8, s8, s7
	s_mul_hi_u32 s8, s7, s8
	s_delay_alu instid0(SALU_CYCLE_1)
	s_add_co_i32 s7, s7, s8
	s_ashr_i32 s8, ttmp9, 31
	s_wait_alu 0xfffe
	s_mul_hi_u32 s7, s9, s7
	s_wait_alu 0xfffe
	s_mul_i32 s7, s7, s5
	s_wait_alu 0xfffe
	s_sub_co_i32 s7, s9, s7
	s_wait_alu 0xfffe
	s_sub_co_i32 s9, s7, s5
	s_cmp_ge_u32 s7, s5
	s_cselect_b32 s7, s9, s7
	s_wait_alu 0xfffe
	s_sub_co_i32 s9, s7, s5
	s_cmp_ge_u32 s7, s5
	s_cselect_b32 s5, s9, s7
	s_abs_i32 s7, s3
	s_xor_b32 s5, s5, s8
	s_wait_alu 0xfffe
	s_cvt_f32_u32 s9, s7
	s_sub_co_i32 s10, 0, s7
	s_sub_co_i32 s5, s5, s8
	s_delay_alu instid0(SALU_CYCLE_1) | instskip(NEXT) | instid1(TRANS32_DEP_1)
	v_rcp_iflag_f32_e32 v1, s9
	v_readfirstlane_b32 s9, v1
	s_mul_f32 s9, s9, 0x4f7ffffe
	s_wait_alu 0xfffe
	s_delay_alu instid0(SALU_CYCLE_2) | instskip(SKIP_1) | instid1(SALU_CYCLE_2)
	s_cvt_u32_f32 s9, s9
	s_wait_alu 0xfffe
	s_mul_i32 s10, s10, s9
	s_delay_alu instid0(SALU_CYCLE_1)
	s_mul_hi_u32 s8, s9, s10
	s_abs_i32 s10, s5
	s_wait_alu 0xfffe
	s_add_co_i32 s9, s9, s8
	s_wait_alu 0xfffe
	s_mul_hi_u32 s8, s10, s9
	s_xor_b32 s9, s5, s3
	s_wait_alu 0xfffe
	s_mul_i32 s11, s8, s7
	s_ashr_i32 s9, s9, 31
	s_sub_co_i32 s10, s10, s11
	s_add_co_i32 s11, s8, 1
	s_sub_co_i32 s12, s10, s7
	s_cmp_ge_u32 s10, s7
	s_cselect_b32 s8, s11, s8
	s_cselect_b32 s10, s12, s10
	s_wait_alu 0xfffe
	s_add_co_i32 s11, s8, 1
	s_cmp_ge_u32 s10, s7
	s_cselect_b32 s7, s11, s8
	s_abs_i32 s8, s6
	s_abs_i32 s12, s4
	s_wait_alu 0xfffe
	s_cvt_f32_u32 s10, s8
	s_sub_co_i32 s11, 0, s8
	s_xor_b32 s7, s7, s9
	s_ashr_i32 s2, s2, 31
	v_rcp_iflag_f32_e32 v1, s10
	s_wait_alu 0xfffe
	s_sub_co_i32 s9, s7, s9
	s_delay_alu instid0(TRANS32_DEP_1) | instskip(SKIP_2) | instid1(SALU_CYCLE_2)
	v_readfirstlane_b32 s10, v1
	s_mul_f32 s10, s10, 0x4f7ffffe
	s_wait_alu 0xfffe
	s_cvt_u32_f32 s10, s10
	s_wait_alu 0xfffe
	s_delay_alu instid0(SALU_CYCLE_2)
	s_mul_i32 s11, s11, s10
	s_wait_alu 0xfffe
	s_mul_hi_u32 s11, s10, s11
	s_wait_alu 0xfffe
	s_add_co_i32 s10, s10, s11
	s_wait_alu 0xfffe
	s_mul_hi_u32 s11, s12, s10
	s_wait_alu 0xfffe
	s_mul_i32 s11, s11, s8
	s_wait_alu 0xfffe
	s_sub_co_i32 s11, s12, s11
	s_load_b256 s[12:19], s[0:1], 0x0
	s_sub_co_i32 s7, s11, s8
	s_cmp_ge_u32 s11, s8
	s_wait_alu 0xfffe
	s_cselect_b32 s7, s7, s11
	s_wait_alu 0xfffe
	s_sub_co_i32 s11, s7, s8
	s_cmp_ge_u32 s7, s8
	s_wait_alu 0xfffe
	s_cselect_b32 s7, s11, s7
	s_wait_alu 0xfffe
	s_xor_b32 s7, s7, s2
	s_wait_alu 0xfffe
	s_sub_co_i32 s2, s7, s2
	s_mul_i32 s7, s9, s3
	s_sub_co_i32 s4, s4, s2
	s_delay_alu instid0(SALU_CYCLE_1)
	s_cmp_lt_i32 s9, s4
	s_cselect_b32 s2, s6, s2
	s_abs_i32 s4, s9
	s_wait_alu 0xfffe
	s_sub_co_i32 s5, s5, s7
	s_mul_hi_u32 s6, s4, s10
	s_clause 0x1
	s_load_b32 s10, s[0:1], 0x70
	s_load_b32 s11, s[0:1], 0xa8
	s_mul_i32 s6, s6, s8
	s_wait_alu 0xfffe
	s_sub_co_i32 s4, s4, s6
	s_ashr_i32 s6, s9, 31
	s_sub_co_i32 s7, s4, s8
	s_cmp_ge_u32 s4, s8
	s_wait_alu 0xfffe
	s_cselect_b32 s4, s7, s4
	s_delay_alu instid0(SALU_CYCLE_1)
	s_sub_co_i32 s7, s4, s8
	s_cmp_ge_u32 s4, s8
	s_wait_alu 0xfffe
	s_cselect_b32 s4, s7, s4
	s_abs_i32 s7, s2
	s_xor_b32 s4, s4, s6
	s_wait_alu 0xfffe
	s_cvt_f32_u32 s8, s7
	s_sub_co_i32 s20, s4, s6
	s_sub_co_i32 s4, 0, s7
	s_mul_i32 s3, s20, s3
	s_wait_alu 0xfffe
	v_rcp_iflag_f32_e32 v1, s8
	s_add_co_i32 s3, s3, s5
	s_delay_alu instid0(SALU_CYCLE_1) | instskip(SKIP_3) | instid1(TRANS32_DEP_1)
	s_abs_i32 s5, s3
	s_xor_b32 s6, s3, s2
	s_wait_alu 0xfffe
	s_ashr_i32 s6, s6, 31
	v_readfirstlane_b32 s8, v1
	v_lshlrev_b32_e32 v1, 1, v0
	s_mul_f32 s8, s8, 0x4f7ffffe
	s_delay_alu instid0(VALU_DEP_1) | instskip(SKIP_1) | instid1(SALU_CYCLE_1)
	v_and_b32_e32 v91, 6, v1
	s_wait_alu 0xfffe
	s_cvt_u32_f32 s8, s8
	s_delay_alu instid0(VALU_DEP_1) | instskip(SKIP_1) | instid1(SALU_CYCLE_1)
	v_lshlrev_b32_e32 v89, 3, v91
	s_wait_alu 0xfffe
	s_mul_i32 s4, s4, s8
	s_delay_alu instid0(SALU_CYCLE_1) | instskip(NEXT) | instid1(SALU_CYCLE_1)
	s_mul_hi_u32 s4, s8, s4
	s_add_co_i32 s8, s8, s4
	s_wait_alu 0xfffe
	s_mul_hi_u32 s4, s5, s8
	s_delay_alu instid0(SALU_CYCLE_1)
	s_mul_i32 s8, s4, s7
	s_wait_alu 0xfffe
	s_sub_co_i32 s5, s5, s8
	s_add_co_i32 s8, s4, 1
	s_sub_co_i32 s21, s5, s7
	s_cmp_ge_u32 s5, s7
	s_wait_alu 0xfffe
	s_cselect_b32 s4, s8, s4
	s_cselect_b32 s5, s21, s5
	s_add_co_i32 s8, s4, 1
	s_cmp_ge_u32 s5, s7
	s_mov_b32 s7, s23
	s_wait_alu 0xfffe
	s_cselect_b32 s4, s8, s4
	s_sub_co_i32 s9, s9, s20
	s_xor_b32 s4, s4, s6
	s_wait_kmcnt 0x0
	s_and_b32 s5, s15, 0xffff
	s_sub_co_i32 s27, s4, s6
	s_lshl_b32 s6, s11, 1
	s_clause 0x1
	s_load_b32 s11, s[0:1], 0x28
	s_load_b32 s15, s[0:1], 0x34
	s_mul_i32 s2, s27, s2
	s_mov_b32 s4, s14
	s_sub_co_i32 s2, s3, s2
	s_clause 0x2
	s_load_b32 s28, s[0:1], 0x7c
	s_load_b32 s8, s[0:1], 0x88
	s_load_b32 s21, s[0:1], 0x60
	s_add_co_i32 s14, s9, s2
	s_load_b32 s9, s[0:1], 0x40
	v_lshl_add_u32 v95, s14, 7, v94
	s_mov_b32 s20, s12
	s_wait_kmcnt 0x0
	s_delay_alu instid0(VALU_DEP_1)
	v_mad_co_u64_u32 v[45:46], null, v95, s11, v[89:90]
	v_cmp_gt_i32_e64 s2, s8, v89
	s_lshl_b32 s22, s21, 1
	s_and_b32 s21, s13, 0xffff
	v_cmp_gt_i32_e32 vcc_lo, s9, v89
	v_add_nc_u32_e32 v53, s11, v45
	v_add_nc_u32_e32 v61, 64, v45
	;; [unrolled: 1-line block ×4, first 2 shown]
	v_lshlrev_b32_e32 v33, 1, v45
	v_add_nc_u32_e32 v65, s11, v53
	v_add_nc_u32_e32 v73, s11, v61
	v_add_lshl_u32 v57, v54, s11, 1
	v_lshlrev_b32_e32 v49, 1, v61
	buffer_load_b128 v[33:36], v33, s[20:23], null offen
	v_add_lshl_u32 v69, v65, s11, 1
	v_lshlrev_b32_e32 v66, 1, v73
	v_lshlrev_b32_e32 v62, 1, v65
	v_add_nc_u32_e32 v74, 8, v65
	v_add_nc_u32_e32 v96, s11, v73
	s_clause 0x1
	buffer_load_b128 v[69:72], v69, s[20:23], null offen
	buffer_load_b128 v[65:68], v66, s[20:23], null offen
	v_and_b32_e32 v92, 0x7e, v90
	v_lshlrev_b32_e32 v75, 1, v74
	v_add_lshl_u32 v77, v74, s11, 1
	s_clause 0x1
	buffer_load_b128 v[57:60], v57, s[20:23], null offen
	buffer_load_b128 v[61:64], v62, s[20:23], null offen
	v_lshl_add_u32 v93, s27, 6, v92
	buffer_load_b128 v[73:76], v75, s[20:23], null offen
	v_lshlrev_b32_e32 v37, 1, v53
	v_lshlrev_b32_e32 v42, 1, v41
	v_add_lshl_u32 v46, v41, s11, 1
	v_mad_co_u64_u32 v[13:14], null, v93, s10, v[89:90]
	s_clause 0x2
	buffer_load_b128 v[37:40], v37, s[20:23], null offen
	buffer_load_b128 v[41:44], v42, s[20:23], null offen
	;; [unrolled: 1-line block ×3, first 2 shown]
	v_lshlrev_b32_e32 v55, 1, v54
	buffer_load_b128 v[49:52], v49, s[20:23], null offen
	v_lshlrev_b32_e32 v81, 1, v96
	v_add_nc_u32_e32 v9, 8, v13
	v_lshlrev_b32_e32 v1, 1, v13
	v_add_lshl_u32 v5, v13, s10, 1
	v_add_nc_u32_e32 v25, 64, v13
	v_add_nc_u32_e32 v21, 0x48, v13
	v_lshlrev_b32_e32 v10, 1, v9
	v_add_lshl_u32 v14, v9, s10, 1
	s_clause 0x1
	buffer_load_b128 v[1:4], v1, s[4:7], null offen
	buffer_load_b128 v[5:8], v5, s[4:7], null offen
	v_lshlrev_b32_e32 v17, 1, v25
	s_clause 0x1
	buffer_load_b128 v[9:12], v10, s[4:7], null offen
	buffer_load_b128 v[13:16], v14, s[4:7], null offen
	v_lshlrev_b32_e32 v22, 1, v21
	v_add_lshl_u32 v26, v21, s10, 1
	buffer_load_b128 v[17:20], v17, s[4:7], null offen
	v_add_lshl_u32 v29, v25, s10, 1
	buffer_load_b128 v[53:56], v55, s[20:23], null offen
	s_clause 0x1
	buffer_load_b128 v[21:24], v22, s[4:7], null offen
	buffer_load_b128 v[25:28], v26, s[4:7], null offen
	v_add_lshl_u32 v85, v96, s11, 1
	buffer_load_b128 v[29:32], v29, s[4:7], null offen
	s_clause 0x1
	buffer_load_b128 v[77:80], v77, s[20:23], null offen
	buffer_load_b128 v[81:84], v81, s[20:23], null offen
	v_add_nc_u32_e32 v96, 8, v96
	v_and_b32_e32 v104, 15, v0
	buffer_load_b128 v[85:88], v85, s[20:23], null offen
	v_lshlrev_b32_e32 v97, 1, v96
	v_add_lshl_u32 v100, v96, s11, 1
	s_clause 0x1
	buffer_load_b128 v[96:99], v97, s[20:23], null offen
	buffer_load_b128 v[100:103], v100, s[20:23], null offen
	v_lshlrev_b32_e32 v106, 2, v0
	v_lshlrev_b32_e32 v108, 3, v0
	;; [unrolled: 1-line block ×3, first 2 shown]
	v_and_or_b32 v146, v90, 16, v104
	v_mul_u32_u24_e32 v94, 0x410, v105
	v_lshlrev_b32_e32 v104, 4, v104
	v_and_b32_e32 v90, 8, v90
	v_and_b32_e32 v212, 24, v108
	v_mul_u32_u24_e32 v108, 0x810, v91
	v_mad_u32_u24 v147, 0x810, v91, v0
	v_lshlrev_b32_e32 v0, 10, v91
	v_lshl_add_u32 v155, v146, 4, v94
	v_and_or_b32 v91, 0x300, v106, v104
	v_and_or_b32 v90, v107, 16, v90
	v_or_b32_e32 v94, 8, v89
	v_or_b32_e32 v104, 64, v89
	;; [unrolled: 1-line block ×4, first 2 shown]
	v_sub_nc_u32_e32 v0, v108, v0
	v_mad_u32_u24 v204, 0x810, v105, v91
	v_lshlrev_b32_e32 v180, 7, v90
	v_cmp_gt_i32_e64 s3, s9, v94
	v_cmp_gt_i32_e64 s5, s9, v104
	v_cmp_gt_i32_e64 s6, s9, v106
	v_cmp_gt_i32_e64 s9, s28, v93
	v_cmp_gt_i32_e64 s10, s28, v89
	v_or_b32_e32 v89, 1, v95
	v_or_b32_e32 v90, 2, v95
	;; [unrolled: 1-line block ×3, first 2 shown]
	v_cmp_gt_i32_e64 s4, s8, v94
	v_lshl_add_u32 v148, v92, 4, v0
	v_add_nc_u32_e32 v0, s14, v211
	v_cmp_gt_i32_e64 s11, s15, v95
	v_cmp_gt_i32_e64 s12, s15, v89
	;; [unrolled: 1-line block ×4, first 2 shown]
	s_and_b32 s15, s2, s9
	s_and_b32 s2, s2, s10
	v_cmp_gt_i32_e64 s7, s8, v104
	v_cmp_gt_i32_e64 s8, s8, v106
	s_clause 0x1
	s_load_b32 s20, s[0:1], 0xf8
	s_load_b32 s26, s[0:1], 0xb8
	v_lshl_or_b32 v145, v0, 7, v210
	v_lshl_or_b32 v146, v146, 2, v180
	;; [unrolled: 1-line block ×3, first 2 shown]
	s_and_b32 s21, s17, 0xffff
	s_wait_kmcnt 0x0
	s_lshl_b32 s22, s20, 1
	s_delay_alu instid0(VALU_DEP_1)
	v_mad_co_u64_u32 v[208:209], null, v145, s26, v[144:145]
	s_mov_b32 s20, s16
	v_lshlrev_b32_e32 v205, 1, v208
	s_wait_loadcnt 0xd
	v_cndmask_b32_e64 v4, 0, v4, s15
	s_wait_loadcnt 0xc
	v_cndmask_b32_e64 v8, 0, v8, s2
	v_cndmask_b32_e64 v7, 0, v7, s2
	v_cndmask_b32_e64 v6, 0, v6, s2
	v_cndmask_b32_e64 v5, 0, v5, s2
	s_and_b32 s2, s4, s9
	v_cndmask_b32_e64 v3, 0, v3, s15
	s_wait_loadcnt 0xb
	s_wait_alu 0xfffe
	v_cndmask_b32_e64 v12, 0, v12, s2
	v_cndmask_b32_e64 v11, 0, v11, s2
	v_cndmask_b32_e64 v10, 0, v10, s2
	v_cndmask_b32_e64 v9, 0, v9, s2
	s_and_b32 s2, s4, s10
	v_cndmask_b32_e64 v2, 0, v2, s15
	s_wait_loadcnt 0xa
	s_wait_alu 0xfffe
	;; [unrolled: 8-line block ×3, first 2 shown]
	v_cndmask_b32_e64 v115, 0, v20, s2
	v_cndmask_b32_e64 v114, 0, v19, s2
	;; [unrolled: 1-line block ×4, first 2 shown]
	s_and_b32 s2, s8, s9
	s_load_b32 s4, s[0:1], 0x108
	s_wait_loadcnt 0x7
	v_cndmask_b32_e64 v119, 0, v24, s2
	v_cndmask_b32_e64 v118, 0, v23, s2
	;; [unrolled: 1-line block ×4, first 2 shown]
	s_and_b32 s2, s8, s10
	s_mov_b32 s8, s18
	s_wait_loadcnt 0x6
	s_wait_alu 0xfffe
	v_cndmask_b32_e64 v123, 0, v28, s2
	v_cndmask_b32_e64 v122, 0, v27, s2
	;; [unrolled: 1-line block ×4, first 2 shown]
	s_and_b32 s2, s7, s10
	s_load_b32 s7, s[0:1], 0xc4
	s_wait_loadcnt 0x5
	v_cndmask_b32_e64 v127, 0, v32, s2
	v_cndmask_b32_e64 v126, 0, v31, s2
	;; [unrolled: 1-line block ×4, first 2 shown]
	s_and_b32 s2, vcc_lo, s11
	s_wait_alu 0xfffe
	v_cndmask_b32_e64 v20, 0, v36, s2
	v_cndmask_b32_e64 v19, 0, v35, s2
	;; [unrolled: 1-line block ×4, first 2 shown]
	s_and_b32 s2, vcc_lo, s12
	s_wait_alu 0xfffe
	v_cndmask_b32_e64 v24, 0, v40, s2
	v_cndmask_b32_e64 v23, 0, v39, s2
	v_cndmask_b32_e64 v22, 0, v38, s2
	v_cndmask_b32_e64 v21, 0, v37, s2
	s_and_b32 s2, s3, s11
	s_wait_alu 0xfffe
	v_cndmask_b32_e64 v28, 0, v44, s2
	v_cndmask_b32_e64 v27, 0, v43, s2
	v_cndmask_b32_e64 v26, 0, v42, s2
	v_cndmask_b32_e64 v25, 0, v41, s2
	s_and_b32 s2, s3, s12
	;; [unrolled: 6-line block ×3, first 2 shown]
	ds_store_b128 v147, v[17:20]
	ds_store_b128 v147, v[21:24] offset:16
	ds_store_b128 v147, v[29:32] offset:2080
	;; [unrolled: 1-line block ×3, first 2 shown]
	s_wait_alu 0xfffe
	v_cndmask_b32_e64 v43, 0, v52, s2
	v_cndmask_b32_e64 v42, 0, v51, s2
	;; [unrolled: 1-line block ×4, first 2 shown]
	s_and_b32 s2, s6, s11
	s_mov_b32 s11, s23
	s_wait_alu 0xfffe
	v_cndmask_b32_e64 v47, 0, v56, s2
	v_cndmask_b32_e64 v46, 0, v55, s2
	;; [unrolled: 1-line block ×4, first 2 shown]
	s_and_b32 s2, s6, s12
	s_wait_alu 0xfffe
	v_cndmask_b32_e64 v51, 0, v60, s2
	v_cndmask_b32_e64 v50, 0, v59, s2
	;; [unrolled: 1-line block ×4, first 2 shown]
	s_and_b32 s2, vcc_lo, s13
	s_and_b32 vcc_lo, vcc_lo, s14
	s_wait_alu 0xfffe
	v_cndmask_b32_e64 v36, 0, v64, s2
	v_dual_cndmask_b32 v20, 0, v72 :: v_dual_cndmask_b32 v19, 0, v71
	v_dual_cndmask_b32 v18, 0, v70 :: v_dual_cndmask_b32 v17, 0, v69
	s_and_b32 vcc_lo, s3, s13
	v_cndmask_b32_e64 v35, 0, v63, s2
	s_wait_alu 0xfffe
	v_dual_cndmask_b32 v24, 0, v76 :: v_dual_cndmask_b32 v23, 0, v75
	v_dual_cndmask_b32 v22, 0, v74 :: v_dual_cndmask_b32 v21, 0, v73
	s_and_b32 vcc_lo, s3, s14
	v_cndmask_b32_e64 v34, 0, v62, s2
	v_cndmask_b32_e64 v33, 0, v61, s2
	s_wait_loadcnt 0x4
	s_wait_alu 0xfffe
	v_dual_cndmask_b32 v28, 0, v80 :: v_dual_cndmask_b32 v27, 0, v79
	v_dual_cndmask_b32 v26, 0, v78 :: v_dual_cndmask_b32 v25, 0, v77
	s_and_b32 vcc_lo, s5, s13
	s_and_b32 s2, s5, s12
	s_wait_loadcnt 0x3
	s_wait_alu 0xfffe
	v_dual_cndmask_b32 v59, 0, v84 :: v_dual_cndmask_b32 v58, 0, v83
	v_dual_cndmask_b32 v57, 0, v82 :: v_dual_cndmask_b32 v56, 0, v81
	s_and_b32 vcc_lo, s5, s14
	v_cndmask_b32_e64 v55, 0, v68, s2
	v_cndmask_b32_e64 v54, 0, v67, s2
	;; [unrolled: 1-line block ×4, first 2 shown]
	ds_store_b128 v147, v[33:36] offset:32
	ds_store_b128 v147, v[17:20] offset:48
	s_wait_loadcnt 0x2
	s_wait_alu 0xfffe
	v_cndmask_b32_e32 v35, 0, v88, vcc_lo
	ds_store_b128 v147, v[25:28] offset:2112
	ds_store_b128 v147, v[21:24] offset:2096
	;; [unrolled: 1-line block ×6, first 2 shown]
	s_wait_dscnt 0x0
	s_barrier_signal -1
	s_barrier_wait -1
	ds_load_b128 v[156:159], v204
	ds_load_b128 v[128:131], v204 offset:512
	ds_load_b128 v[160:163], v204 offset:4128
	;; [unrolled: 1-line block ×23, first 2 shown]
	v_dual_cndmask_b32 v34, 0, v87 :: v_dual_cndmask_b32 v33, 0, v86
	v_cndmask_b32_e32 v32, 0, v85, vcc_lo
	s_and_b32 vcc_lo, s6, s13
	s_wait_loadcnt_dscnt 0x100
	s_wait_alu 0xfffe
	v_dual_cndmask_b32 v11, 0, v99 :: v_dual_cndmask_b32 v10, 0, v98
	v_dual_cndmask_b32 v9, 0, v97 :: v_dual_cndmask_b32 v8, 0, v96
	s_and_b32 vcc_lo, s6, s14
	s_barrier_signal -1
	s_wait_loadcnt 0x0
	s_wait_alu 0xfffe
	v_dual_cndmask_b32 v63, 0, v103 :: v_dual_cndmask_b32 v62, 0, v102
	v_dual_cndmask_b32 v61, 0, v101 :: v_dual_cndmask_b32 v60, 0, v100
	s_barrier_wait -1
	ds_store_b128 v147, v[40:43]
	ds_store_b128 v147, v[52:55] offset:16
	ds_store_b128 v147, v[48:51] offset:2080
	;; [unrolled: 1-line block ×11, first 2 shown]
	s_wait_dscnt 0x0
	s_barrier_signal -1
	s_barrier_wait -1
	ds_load_b128 v[8:11], v155 offset:16496
	ds_load_b128 v[172:175], v204
	v_wmma_f32_16x16x16_f16 v[147:154], v[156:159], v[24:27], 0
	ds_load_b128 v[32:35], v155 offset:18576
	ds_load_b128 v[176:179], v204 offset:4128
	;; [unrolled: 1-line block ×6, first 2 shown]
	v_wmma_f32_16x16x16_f16 v[147:154], v[160:163], v[28:31], v[147:154]
	ds_load_b128 v[188:191], v204 offset:512
	ds_load_b128 v[100:103], v155 offset:17008
	;; [unrolled: 1-line block ×14, first 2 shown]
	v_wmma_f32_16x16x16_f16 v[147:154], v[164:167], v[36:39], v[147:154]
	ds_load_b128 v[112:115], v204 offset:13408
	ds_load_b128 v[48:51], v204 offset:13920
	s_wait_dscnt 0x0
	s_barrier_signal -1
	s_barrier_wait -1
	v_wmma_f32_16x16x16_f16 v[147:154], v[168:171], v[4:7], v[147:154]
	s_wait_kmcnt 0x0
	v_cmp_gt_i32_e64 s3, s7, v145
	s_lshl_b32 s13, s4, 5
	v_wmma_f32_16x16x16_f16 v[147:154], v[172:175], v[8:11], v[147:154]
	s_delay_alu instid0(VALU_DEP_1) | instskip(NEXT) | instid1(VALU_DEP_1)
	v_wmma_f32_16x16x16_f16 v[147:154], v[176:179], v[32:35], v[147:154]
	v_wmma_f32_16x16x16_f16 v[147:154], v[180:183], v[44:47], v[147:154]
	s_delay_alu instid0(VALU_DEP_1)
	v_wmma_f32_16x16x16_f16 v[147:154], v[184:187], v[40:43], v[147:154]
	ds_store_2addr_b32 v146, v147, v148 offset1:32
	ds_store_2addr_b32 v146, v149, v150 offset0:64 offset1:96
	ds_store_2addr_b32 v146, v151, v152 offset0:128 offset1:160
	;; [unrolled: 1-line block ×3, first 2 shown]
	s_wait_dscnt 0x0
	s_barrier_signal -1
	s_barrier_wait -1
	buffer_load_b128 v[204:207], v205, s[20:23], null offen
	s_clause 0x3
	s_load_b32 s12, s[0:1], 0x120
	s_load_b32 s9, s[0:1], 0x148
	;; [unrolled: 1-line block ×4, first 2 shown]
	v_wmma_f32_16x16x16_f16 v[148:155], v[156:159], v[64:67], 0
	v_lshlrev_b32_e32 v147, 7, v210
	v_lshlrev_b32_e32 v156, 12, v211
	;; [unrolled: 1-line block ×3, first 2 shown]
	s_delay_alu instid0(VALU_DEP_4) | instskip(NEXT) | instid1(VALU_DEP_2)
	v_wmma_f32_16x16x16_f16 v[148:155], v[160:163], v[68:71], v[148:155]
	v_or3_b32 v147, v147, v156, v157
	s_delay_alu instid0(VALU_DEP_2) | instskip(NEXT) | instid1(VALU_DEP_1)
	v_wmma_f32_16x16x16_f16 v[148:155], v[164:167], v[72:75], v[148:155]
	v_wmma_f32_16x16x16_f16 v[148:155], v[168:171], v[76:79], v[148:155]
	s_wait_kmcnt 0x0
	v_cmp_gt_i32_e64 s0, s12, v144
	v_mad_co_u64_u32 v[170:171], null, v145, s4, v[144:145]
	v_cmp_gt_i32_e64 s1, s6, v145
	v_cmp_gt_i32_e32 vcc_lo, s5, v144
	v_wmma_f32_16x16x16_f16 v[148:155], v[172:175], v[100:103], v[148:155]
	v_add_nc_u32_e32 v171, 32, v208
	s_lshl_b32 s10, s9, 1
	s_and_b32 s2, s0, s1
	s_and_b32 s9, s19, 0xffff
	s_wait_alu 0xfffe
	v_cndmask_b32_e64 v156, 0x80000000, 0, s2
	s_and_b32 s2, vcc_lo, s3
	v_wmma_f32_16x16x16_f16 v[148:155], v[176:179], v[96:99], v[148:155]
	v_or_b32_e32 v144, 32, v144
	s_delay_alu instid0(VALU_DEP_3) | instskip(SKIP_3) | instid1(VALU_DEP_1)
	v_lshl_add_u32 v168, v170, 1, v156
	ds_load_b128 v[156:159], v147 offset:16
	ds_load_b128 v[160:163], v147
	v_wmma_f32_16x16x16_f16 v[148:155], v[180:183], v[84:87], v[148:155]
	v_wmma_f32_16x16x16_f16 v[148:155], v[184:187], v[80:83], v[148:155]
	s_wait_loadcnt 0x0
	s_wait_alu 0xfffe
	v_cndmask_b32_e64 v164, 0, v206, s2
	v_cndmask_b32_e64 v165, 0, v207, s2
	v_cndmask_b32_e64 v166, 0, v204, s2
	v_cndmask_b32_e64 v167, 0, v205, s2
	v_cmp_gt_i32_e64 s2, s12, v144
	v_cvt_f32_f16_e64 v169, v164
	v_cvt_f32_f16_e64 v172, v165
	v_lshrrev_b32_e32 v165, 16, v165
	v_lshrrev_b32_e32 v164, 16, v164
	v_cvt_f32_f16_e64 v173, v166
	v_cvt_f32_f16_e64 v174, v167
	v_lshrrev_b32_e32 v167, 16, v167
	v_lshrrev_b32_e32 v166, 16, v166
	v_dual_mul_f32 v169, s25, v169 :: v_dual_mul_f32 v172, s25, v172
	v_cvt_f32_f16_e64 v165, v165
	v_cvt_f32_f16_e64 v164, v164
	v_dual_mul_f32 v173, s25, v173 :: v_dual_mul_f32 v174, s25, v174
	v_cvt_f32_f16_e64 v175, v167
	v_cvt_f32_f16_e64 v176, v166
	s_wait_dscnt 0x1
	v_fma_mixlo_f16 v166, v156, s24, v169
	v_fma_mixlo_f16 v167, v158, s24, v172
	v_mul_f32_e32 v156, s25, v165
	v_mul_f32_e32 v158, s25, v164
	s_wait_dscnt 0x0
	v_fma_mixlo_f16 v164, v160, s24, v173
	v_fma_mixlo_f16 v165, v162, s24, v174
	v_mul_f32_e32 v160, s25, v175
	v_mul_f32_e32 v162, s25, v176
	v_fma_mixhi_f16 v167, v159, s24, v156
	v_fma_mixhi_f16 v166, v157, s24, v158
	v_lshlrev_b32_e32 v156, 1, v171
	v_fma_mixhi_f16 v165, v163, s24, v160
	v_fma_mixhi_f16 v164, v161, s24, v162
	s_and_b32 s1, s1, s2
	v_add_nc_u32_e32 v172, 32, v170
	v_cndmask_b32_e64 v160, 0x80000000, 0, s1
	v_cmp_gt_i32_e64 s1, s5, v144
	buffer_store_b128 v[164:167], v168, s[8:11], null offen
	s_wait_dscnt 0x0
	s_barrier_signal -1
	s_barrier_wait -1
	ds_store_2addr_b32 v146, v148, v149 offset1:32
	ds_store_2addr_b32 v146, v150, v151 offset0:64 offset1:96
	ds_store_2addr_b32 v146, v152, v153 offset0:128 offset1:160
	;; [unrolled: 1-line block ×3, first 2 shown]
	s_wait_dscnt 0x0
	s_barrier_signal -1
	s_barrier_wait -1
	buffer_load_b128 v[156:159], v156, s[20:23], null offen
	v_wmma_f32_16x16x16_f16 v[148:155], v[128:131], v[64:67], 0
	s_and_b32 s3, s3, s1
	v_lshl_add_u32 v144, v172, 1, v160
	s_lshl_b32 s12, s26, 5
	s_delay_alu instid0(VALU_DEP_2) | instskip(NEXT) | instid1(VALU_DEP_1)
	v_wmma_f32_16x16x16_f16 v[148:155], v[136:139], v[68:71], v[148:155]
	v_wmma_f32_16x16x16_f16 v[148:155], v[140:143], v[72:75], v[148:155]
	s_delay_alu instid0(VALU_DEP_1) | instskip(NEXT) | instid1(VALU_DEP_1)
	v_wmma_f32_16x16x16_f16 v[148:155], v[132:135], v[76:79], v[148:155]
	v_wmma_f32_16x16x16_f16 v[148:155], v[188:191], v[100:103], v[148:155]
	s_delay_alu instid0(VALU_DEP_1) | instskip(NEXT) | instid1(VALU_DEP_1)
	v_wmma_f32_16x16x16_f16 v[148:155], v[192:195], v[96:99], v[148:155]
	v_wmma_f32_16x16x16_f16 v[148:155], v[196:199], v[84:87], v[148:155]
	s_delay_alu instid0(VALU_DEP_1)
	v_wmma_f32_16x16x16_f16 v[148:155], v[200:203], v[80:83], v[148:155]
	s_wait_loadcnt 0x0
	s_wait_alu 0xfffe
	v_cndmask_b32_e64 v166, 0, v158, s3
	v_cndmask_b32_e64 v167, 0, v159, s3
	ds_load_b128 v[158:161], v147 offset:16
	ds_load_b128 v[162:165], v147
	v_cndmask_b32_e64 v156, 0, v156, s3
	v_cndmask_b32_e64 v157, 0, v157, s3
	v_cvt_f32_f16_e64 v168, v166
	v_cvt_f32_f16_e64 v169, v167
	v_lshrrev_b32_e32 v167, 16, v167
	v_lshrrev_b32_e32 v166, 16, v166
	v_cvt_f32_f16_e64 v173, v156
	v_cvt_f32_f16_e64 v174, v157
	v_lshrrev_b32_e32 v157, 16, v157
	v_lshrrev_b32_e32 v156, 16, v156
	v_dual_mul_f32 v168, s25, v168 :: v_dual_mul_f32 v169, s25, v169
	v_cvt_f32_f16_e64 v167, v167
	v_cvt_f32_f16_e64 v166, v166
	v_dual_mul_f32 v173, s25, v173 :: v_dual_mul_f32 v174, s25, v174
	v_cvt_f32_f16_e64 v157, v157
	v_cvt_f32_f16_e64 v156, v156
	s_wait_dscnt 0x1
	v_fma_mixlo_f16 v168, v158, s24, v168
	v_fma_mixlo_f16 v169, v160, s24, v169
	v_mul_f32_e32 v158, s25, v167
	v_mul_f32_e32 v160, s25, v166
	s_wait_dscnt 0x0
	v_fma_mixlo_f16 v166, v162, s24, v173
	v_fma_mixlo_f16 v167, v164, s24, v174
	v_dual_mul_f32 v157, s25, v157 :: v_dual_mul_f32 v156, s25, v156
	v_fma_mixhi_f16 v169, v161, s24, v158
	v_fma_mixhi_f16 v168, v159, s24, v160
	s_delay_alu instid0(VALU_DEP_3) | instskip(NEXT) | instid1(VALU_DEP_4)
	v_fma_mixhi_f16 v167, v165, s24, v157
	v_fma_mixhi_f16 v166, v163, s24, v156
	v_add_lshl_u32 v156, v171, s12, 1
	buffer_store_b128 v[166:169], v144, s[8:11], null offen
	s_wait_dscnt 0x0
	s_barrier_signal -1
	s_barrier_wait -1
	ds_store_2addr_b32 v146, v148, v149 offset1:32
	ds_store_2addr_b32 v146, v150, v151 offset0:64 offset1:96
	ds_store_2addr_b32 v146, v152, v153 offset0:128 offset1:160
	;; [unrolled: 1-line block ×3, first 2 shown]
	s_wait_dscnt 0x0
	s_barrier_signal -1
	s_barrier_wait -1
	buffer_load_b128 v[156:159], v156, s[20:23], null offen
	v_wmma_f32_16x16x16_f16 v[148:155], v[128:131], v[24:27], 0
	v_or_b32_e32 v128, 32, v145
	v_add_nc_u32_e32 v130, s13, v172
	s_delay_alu instid0(VALU_DEP_3) | instskip(NEXT) | instid1(VALU_DEP_3)
	v_wmma_f32_16x16x16_f16 v[148:155], v[136:139], v[28:31], v[148:155]
	v_cmp_gt_i32_e64 s3, s6, v128
	s_delay_alu instid0(VALU_DEP_2)
	v_wmma_f32_16x16x16_f16 v[148:155], v[140:143], v[36:39], v[148:155]
	v_add_nc_u32_e32 v140, s12, v208
	s_and_b32 s4, s2, s3
	s_and_b32 s3, s0, s3
	s_wait_alu 0xfffe
	v_cndmask_b32_e64 v129, 0x80000000, 0, s4
	v_cmp_gt_i32_e64 s4, s7, v128
	v_wmma_f32_16x16x16_f16 v[148:155], v[132:135], v[4:7], v[148:155]
	s_delay_alu instid0(VALU_DEP_3) | instskip(SKIP_4) | instid1(VALU_DEP_1)
	v_lshl_add_u32 v141, v130, 1, v129
	ds_load_b128 v[128:131], v147 offset:16
	ds_load_b128 v[132:135], v147
	s_and_b32 s5, s1, s4
	v_wmma_f32_16x16x16_f16 v[148:155], v[188:191], v[8:11], v[148:155]
	v_wmma_f32_16x16x16_f16 v[148:155], v[192:195], v[32:35], v[148:155]
	s_delay_alu instid0(VALU_DEP_1) | instskip(NEXT) | instid1(VALU_DEP_1)
	v_wmma_f32_16x16x16_f16 v[148:155], v[196:199], v[44:47], v[148:155]
	v_wmma_f32_16x16x16_f16 v[148:155], v[200:203], v[40:43], v[148:155]
	s_wait_loadcnt 0x0
	s_wait_alu 0xfffe
	v_cndmask_b32_e64 v136, 0, v158, s5
	v_cndmask_b32_e64 v137, 0, v159, s5
	;; [unrolled: 1-line block ×4, first 2 shown]
	s_delay_alu instid0(VALU_DEP_4) | instskip(NEXT) | instid1(VALU_DEP_4)
	v_cvt_f32_f16_e64 v142, v136
	v_cvt_f32_f16_e64 v143, v137
	v_lshrrev_b32_e32 v137, 16, v137
	v_lshrrev_b32_e32 v136, 16, v136
	v_cvt_f32_f16_e64 v144, v138
	v_cvt_f32_f16_e64 v156, v139
	v_lshrrev_b32_e32 v139, 16, v139
	v_lshrrev_b32_e32 v138, 16, v138
	v_dual_mul_f32 v142, s25, v142 :: v_dual_mul_f32 v143, s25, v143
	v_cvt_f32_f16_e64 v137, v137
	v_cvt_f32_f16_e64 v136, v136
	v_mul_f32_e32 v144, s25, v144
	v_mul_f32_e32 v156, s25, v156
	v_cvt_f32_f16_e64 v157, v139
	v_cvt_f32_f16_e64 v158, v138
	s_wait_dscnt 0x1
	v_fma_mixlo_f16 v138, v128, s24, v142
	v_fma_mixlo_f16 v139, v130, s24, v143
	v_dual_mul_f32 v128, s25, v137 :: v_dual_add_nc_u32 v143, s12, v140
	v_mul_f32_e32 v130, s25, v136
	s_wait_dscnt 0x0
	v_fma_mixlo_f16 v136, v132, s24, v144
	v_fma_mixlo_f16 v137, v134, s24, v156
	v_mul_f32_e32 v132, s25, v157
	v_mul_f32_e32 v134, s25, v158
	v_fma_mixhi_f16 v139, v131, s24, v128
	v_fma_mixhi_f16 v138, v129, s24, v130
	v_lshlrev_b32_e32 v128, 1, v140
	v_fma_mixhi_f16 v137, v135, s24, v132
	v_fma_mixhi_f16 v136, v133, s24, v134
	v_add_nc_u32_e32 v142, s13, v170
	buffer_store_b128 v[136:139], v141, s[8:11], null offen
	s_wait_dscnt 0x0
	s_barrier_signal -1
	s_barrier_wait -1
	ds_store_2addr_b32 v146, v148, v149 offset1:32
	ds_store_2addr_b32 v146, v150, v151 offset0:64 offset1:96
	ds_store_2addr_b32 v146, v152, v153 offset0:128 offset1:160
	;; [unrolled: 1-line block ×3, first 2 shown]
	s_wait_dscnt 0x0
	s_barrier_signal -1
	s_barrier_wait -1
	buffer_load_b128 v[136:139], v128, s[20:23], null offen
	v_wmma_f32_16x16x16_f16 v[128:135], v[104:107], v[24:27], 0
	v_cndmask_b32_e64 v141, 0x80000000, 0, s3
	s_and_b32 s3, vcc_lo, s4
	s_delay_alu instid0(VALU_DEP_2) | instskip(NEXT) | instid1(VALU_DEP_2)
	v_wmma_f32_16x16x16_f16 v[128:135], v[108:111], v[28:31], v[128:135]
	v_lshl_add_u32 v144, v142, 1, v141
	s_delay_alu instid0(VALU_DEP_2) | instskip(NEXT) | instid1(VALU_DEP_1)
	v_wmma_f32_16x16x16_f16 v[128:135], v[92:95], v[36:39], v[128:135]
	v_wmma_f32_16x16x16_f16 v[128:135], v[88:91], v[4:7], v[128:135]
	s_delay_alu instid0(VALU_DEP_1) | instskip(NEXT) | instid1(VALU_DEP_1)
	v_wmma_f32_16x16x16_f16 v[128:135], v[124:127], v[8:11], v[128:135]
	v_wmma_f32_16x16x16_f16 v[128:135], v[120:123], v[32:35], v[128:135]
	s_delay_alu instid0(VALU_DEP_1) | instskip(NEXT) | instid1(VALU_DEP_1)
	v_wmma_f32_16x16x16_f16 v[128:135], v[116:119], v[44:47], v[128:135]
	v_wmma_f32_16x16x16_f16 v[128:135], v[112:115], v[40:43], v[128:135]
	s_wait_loadcnt 0x0
	s_wait_alu 0xfffe
	v_cndmask_b32_e64 v152, 0, v138, s3
	v_cndmask_b32_e64 v153, 0, v139, s3
	ds_load_b128 v[138:141], v147 offset:16
	ds_load_b128 v[148:151], v147
	v_cndmask_b32_e64 v136, 0, v136, s3
	v_cndmask_b32_e64 v137, 0, v137, s3
	v_cvt_f32_f16_e64 v154, v152
	v_cvt_f32_f16_e64 v155, v153
	v_lshrrev_b32_e32 v153, 16, v153
	v_lshrrev_b32_e32 v152, 16, v152
	v_cvt_f32_f16_e64 v156, v136
	v_cvt_f32_f16_e64 v157, v137
	v_lshrrev_b32_e32 v137, 16, v137
	v_lshrrev_b32_e32 v136, 16, v136
	v_dual_mul_f32 v154, s25, v154 :: v_dual_mul_f32 v155, s25, v155
	v_cvt_f32_f16_e64 v153, v153
	v_cvt_f32_f16_e64 v152, v152
	v_dual_mul_f32 v156, s25, v156 :: v_dual_mul_f32 v157, s25, v157
	v_cvt_f32_f16_e64 v137, v137
	v_cvt_f32_f16_e64 v136, v136
	s_wait_dscnt 0x1
	v_fma_mixlo_f16 v154, v138, s24, v154
	v_fma_mixlo_f16 v155, v140, s24, v155
	v_mul_f32_e32 v138, s25, v153
	v_mul_f32_e32 v140, s25, v152
	s_wait_dscnt 0x0
	v_fma_mixlo_f16 v152, v148, s24, v156
	v_fma_mixlo_f16 v153, v150, s24, v157
	v_dual_mul_f32 v137, s25, v137 :: v_dual_mul_f32 v136, s25, v136
	v_fma_mixhi_f16 v155, v141, s24, v138
	v_fma_mixhi_f16 v154, v139, s24, v140
	s_delay_alu instid0(VALU_DEP_3) | instskip(NEXT) | instid1(VALU_DEP_4)
	v_fma_mixhi_f16 v153, v151, s24, v137
	v_fma_mixhi_f16 v152, v149, s24, v136
	v_lshlrev_b32_e32 v136, 1, v143
	buffer_store_b128 v[152:155], v144, s[8:11], null offen
	s_wait_dscnt 0x0
	s_barrier_signal -1
	s_barrier_wait -1
	ds_store_2addr_b32 v146, v128, v129 offset1:32
	ds_store_2addr_b32 v146, v130, v131 offset0:64 offset1:96
	ds_store_2addr_b32 v146, v132, v133 offset0:128 offset1:160
	;; [unrolled: 1-line block ×3, first 2 shown]
	s_wait_dscnt 0x0
	s_barrier_signal -1
	s_barrier_wait -1
	buffer_load_b128 v[136:139], v136, s[20:23], null offen
	v_wmma_f32_16x16x16_f16 v[128:135], v[104:107], v[64:67], 0
	v_or_b32_e32 v104, 64, v145
	s_delay_alu instid0(VALU_DEP_2) | instskip(SKIP_1) | instid1(VALU_DEP_3)
	v_wmma_f32_16x16x16_f16 v[128:135], v[108:111], v[68:71], v[128:135]
	v_add_nc_u32_e32 v108, s13, v142
	v_cmp_gt_i32_e64 s3, s6, v104
	v_add_nc_u32_e32 v110, 32, v143
	s_delay_alu instid0(VALU_DEP_4) | instskip(SKIP_2) | instid1(VALU_DEP_1)
	v_wmma_f32_16x16x16_f16 v[128:135], v[92:95], v[72:75], v[128:135]
	s_and_b32 s4, s0, s3
	s_and_b32 s3, s2, s3
	v_wmma_f32_16x16x16_f16 v[128:135], v[88:91], v[76:79], v[128:135]
	s_wait_alu 0xfffe
	v_cndmask_b32_e64 v88, 0x80000000, 0, s4
	v_cmp_gt_i32_e64 s4, s7, v104
	s_delay_alu instid0(VALU_DEP_3) | instskip(NEXT) | instid1(VALU_DEP_3)
	v_wmma_f32_16x16x16_f16 v[128:135], v[124:127], v[100:103], v[128:135]
	v_lshl_add_u32 v109, v108, 1, v88
	ds_load_b128 v[88:91], v147
	ds_load_b128 v[92:95], v147 offset:16
	s_and_b32 s5, vcc_lo, s4
	v_wmma_f32_16x16x16_f16 v[128:135], v[120:123], v[96:99], v[128:135]
	s_delay_alu instid0(VALU_DEP_1) | instskip(NEXT) | instid1(VALU_DEP_1)
	v_wmma_f32_16x16x16_f16 v[128:135], v[116:119], v[84:87], v[128:135]
	v_wmma_f32_16x16x16_f16 v[128:135], v[112:115], v[80:83], v[128:135]
	s_wait_loadcnt 0x0
	s_wait_alu 0xfffe
	v_cndmask_b32_e64 v104, 0, v136, s5
	v_cndmask_b32_e64 v105, 0, v137, s5
	;; [unrolled: 1-line block ×4, first 2 shown]
	s_delay_alu instid0(VALU_DEP_4)
	v_cvt_f32_f16_e32 v111, v104
	v_lshrrev_b32_e32 v104, 16, v104
	v_cvt_f32_f16_e32 v120, v105
	v_lshrrev_b32_e32 v105, 16, v105
	;; [unrolled: 2-line block ×4, first 2 shown]
	v_mul_f32_e32 v111, s25, v111
	v_cvt_f32_f16_e32 v123, v104
	v_mul_f32_e32 v120, s25, v120
	v_cvt_f32_f16_e32 v124, v105
	;; [unrolled: 2-line block ×4, first 2 shown]
	s_wait_dscnt 0x1
	v_fma_mixlo_f16 v104, v88, s24, v111
	v_fma_mixlo_f16 v105, v90, s24, v120
	s_wait_dscnt 0x0
	v_fma_mixlo_f16 v106, v92, s24, v121
	v_fma_mixlo_f16 v107, v94, s24, v107
	v_mul_f32_e32 v88, s25, v122
	v_mul_f32_e32 v90, s25, v125
	;; [unrolled: 1-line block ×4, first 2 shown]
	s_delay_alu instid0(VALU_DEP_4) | instskip(NEXT) | instid1(VALU_DEP_4)
	v_fma_mixhi_f16 v107, v95, s24, v88
	v_fma_mixhi_f16 v106, v93, s24, v90
	s_delay_alu instid0(VALU_DEP_4) | instskip(NEXT) | instid1(VALU_DEP_4)
	v_fma_mixhi_f16 v105, v91, s24, v92
	v_fma_mixhi_f16 v104, v89, s24, v94
	v_lshlrev_b32_e32 v88, 1, v110
	buffer_store_b128 v[104:107], v109, s[8:11], null offen
	s_wait_dscnt 0x0
	s_barrier_signal -1
	s_barrier_wait -1
	ds_store_2addr_b32 v146, v128, v129 offset1:32
	ds_store_2addr_b32 v146, v130, v131 offset0:64 offset1:96
	ds_store_2addr_b32 v146, v132, v133 offset0:128 offset1:160
	;; [unrolled: 1-line block ×3, first 2 shown]
	s_wait_dscnt 0x0
	s_barrier_signal -1
	s_barrier_wait -1
	buffer_load_b128 v[104:107], v88, s[20:23], null offen
	v_wmma_f32_16x16x16_f16 v[88:95], v[12:15], v[64:67], 0
	v_cndmask_b32_e64 v64, 0x80000000, 0, s3
	s_and_b32 s3, s1, s4
	s_delay_alu instid0(VALU_DEP_2) | instskip(NEXT) | instid1(VALU_DEP_1)
	v_wmma_f32_16x16x16_f16 v[88:95], v[16:19], v[68:71], v[88:95]
	v_wmma_f32_16x16x16_f16 v[88:95], v[20:23], v[72:75], v[88:95]
	s_delay_alu instid0(VALU_DEP_1) | instskip(SKIP_1) | instid1(VALU_DEP_2)
	v_wmma_f32_16x16x16_f16 v[88:95], v[0:3], v[76:79], v[88:95]
	v_add_nc_u32_e32 v76, 32, v108
	v_wmma_f32_16x16x16_f16 v[88:95], v[60:63], v[100:103], v[88:95]
	s_delay_alu instid0(VALU_DEP_2) | instskip(SKIP_3) | instid1(VALU_DEP_1)
	v_lshl_add_u32 v77, v76, 1, v64
	ds_load_b128 v[64:67], v147
	ds_load_b128 v[68:71], v147 offset:16
	v_wmma_f32_16x16x16_f16 v[88:95], v[56:59], v[96:99], v[88:95]
	v_wmma_f32_16x16x16_f16 v[88:95], v[52:55], v[84:87], v[88:95]
	s_delay_alu instid0(VALU_DEP_1)
	v_wmma_f32_16x16x16_f16 v[88:95], v[48:51], v[80:83], v[88:95]
	s_wait_loadcnt 0x0
	s_wait_alu 0xfffe
	v_cndmask_b32_e64 v72, 0, v104, s3
	v_cndmask_b32_e64 v73, 0, v105, s3
	;; [unrolled: 1-line block ×4, first 2 shown]
	s_delay_alu instid0(VALU_DEP_4)
	v_cvt_f32_f16_e32 v78, v72
	v_lshrrev_b32_e32 v72, 16, v72
	v_cvt_f32_f16_e32 v79, v73
	v_lshrrev_b32_e32 v73, 16, v73
	v_cvt_f32_f16_e32 v96, v75
	v_lshrrev_b32_e32 v75, 16, v75
	v_cvt_f32_f16_e32 v97, v74
	v_lshrrev_b32_e32 v74, 16, v74
	v_mul_f32_e32 v78, s25, v78
	v_cvt_f32_f16_e32 v98, v72
	v_mul_f32_e32 v79, s25, v79
	v_cvt_f32_f16_e32 v99, v73
	;; [unrolled: 2-line block ×4, first 2 shown]
	s_wait_dscnt 0x1
	v_fma_mixlo_f16 v72, v64, s24, v78
	v_fma_mixlo_f16 v73, v66, s24, v79
	s_wait_dscnt 0x0
	v_fma_mixlo_f16 v74, v68, s24, v96
	v_fma_mixlo_f16 v75, v70, s24, v75
	v_mul_f32_e32 v64, s25, v97
	v_mul_f32_e32 v66, s25, v100
	;; [unrolled: 1-line block ×4, first 2 shown]
	s_delay_alu instid0(VALU_DEP_4) | instskip(NEXT) | instid1(VALU_DEP_4)
	v_fma_mixhi_f16 v75, v71, s24, v64
	v_fma_mixhi_f16 v74, v69, s24, v66
	s_delay_alu instid0(VALU_DEP_4) | instskip(NEXT) | instid1(VALU_DEP_4)
	v_fma_mixhi_f16 v73, v67, s24, v68
	v_fma_mixhi_f16 v72, v65, s24, v70
	v_add_lshl_u32 v64, v110, s12, 1
	buffer_store_b128 v[72:75], v77, s[8:11], null offen
	s_wait_dscnt 0x0
	s_barrier_signal -1
	s_barrier_wait -1
	ds_store_2addr_b32 v146, v88, v89 offset1:32
	ds_store_2addr_b32 v146, v90, v91 offset0:64 offset1:96
	ds_store_2addr_b32 v146, v92, v93 offset0:128 offset1:160
	;; [unrolled: 1-line block ×3, first 2 shown]
	s_wait_dscnt 0x0
	s_barrier_signal -1
	s_barrier_wait -1
	buffer_load_b128 v[72:75], v64, s[20:23], null offen
	v_wmma_f32_16x16x16_f16 v[64:71], v[12:15], v[24:27], 0
	v_or_b32_e32 v12, 0x60, v145
	s_delay_alu instid0(VALU_DEP_2) | instskip(NEXT) | instid1(VALU_DEP_2)
	v_wmma_f32_16x16x16_f16 v[64:71], v[16:19], v[28:31], v[64:71]
	v_cmp_gt_i32_e64 s3, s6, v12
	s_delay_alu instid0(VALU_DEP_2) | instskip(SKIP_2) | instid1(VALU_DEP_1)
	v_wmma_f32_16x16x16_f16 v[64:71], v[20:23], v[36:39], v[64:71]
	s_and_b32 s2, s2, s3
	s_and_b32 s0, s0, s3
	v_wmma_f32_16x16x16_f16 v[64:71], v[0:3], v[4:7], v[64:71]
	s_wait_alu 0xfffe
	v_cndmask_b32_e64 v0, 0x80000000, 0, s2
	v_add_nc_u32_e32 v1, s13, v76
	v_cmp_gt_i32_e64 s2, s7, v12
	v_wmma_f32_16x16x16_f16 v[64:71], v[60:63], v[8:11], v[64:71]
	s_delay_alu instid0(VALU_DEP_3)
	v_lshl_add_u32 v12, v1, 1, v0
	ds_load_b128 v[0:3], v147
	ds_load_b128 v[4:7], v147 offset:16
	s_and_b32 s1, s1, s2
	v_wmma_f32_16x16x16_f16 v[64:71], v[56:59], v[32:35], v[64:71]
	s_and_b32 vcc_lo, vcc_lo, s2
	s_delay_alu instid0(VALU_DEP_1) | instskip(NEXT) | instid1(VALU_DEP_1)
	v_wmma_f32_16x16x16_f16 v[64:71], v[52:55], v[44:47], v[64:71]
	v_wmma_f32_16x16x16_f16 v[64:71], v[48:51], v[40:43], v[64:71]
	s_wait_loadcnt 0x0
	s_wait_alu 0xfffe
	v_cndmask_b32_e64 v8, 0, v72, s1
	v_cndmask_b32_e64 v9, 0, v73, s1
	;; [unrolled: 1-line block ×4, first 2 shown]
	s_delay_alu instid0(VALU_DEP_4)
	v_cvt_f32_f16_e32 v13, v8
	v_lshrrev_b32_e32 v8, 16, v8
	v_cvt_f32_f16_e32 v14, v9
	v_lshrrev_b32_e32 v9, 16, v9
	;; [unrolled: 2-line block ×4, first 2 shown]
	v_mul_f32_e32 v13, s25, v13
	v_cvt_f32_f16_e32 v17, v8
	v_mul_f32_e32 v14, s25, v14
	v_cvt_f32_f16_e32 v18, v9
	;; [unrolled: 2-line block ×4, first 2 shown]
	s_wait_dscnt 0x1
	v_fma_mixlo_f16 v8, v0, s24, v13
	v_fma_mixlo_f16 v9, v2, s24, v14
	s_wait_dscnt 0x0
	v_fma_mixlo_f16 v10, v4, s24, v15
	v_fma_mixlo_f16 v11, v6, s24, v11
	v_mul_f32_e32 v0, s25, v16
	v_mul_f32_e32 v2, s25, v19
	;; [unrolled: 1-line block ×4, first 2 shown]
	s_delay_alu instid0(VALU_DEP_4) | instskip(NEXT) | instid1(VALU_DEP_4)
	v_fma_mixhi_f16 v11, v7, s24, v0
	v_fma_mixhi_f16 v10, v5, s24, v2
	s_delay_alu instid0(VALU_DEP_4) | instskip(NEXT) | instid1(VALU_DEP_4)
	v_fma_mixhi_f16 v9, v3, s24, v4
	v_fma_mixhi_f16 v8, v1, s24, v6
	v_add_lshl_u32 v0, v143, s12, 1
	buffer_store_b128 v[8:11], v12, s[8:11], null offen
	s_wait_dscnt 0x0
	s_barrier_signal -1
	s_barrier_wait -1
	ds_store_2addr_b32 v146, v64, v65 offset1:32
	ds_store_2addr_b32 v146, v66, v67 offset0:64 offset1:96
	ds_store_2addr_b32 v146, v68, v69 offset0:128 offset1:160
	;; [unrolled: 1-line block ×3, first 2 shown]
	s_wait_dscnt 0x0
	s_barrier_signal -1
	s_barrier_wait -1
	buffer_load_b128 v[0:3], v0, s[20:23], null offen
	ds_load_b128 v[4:7], v147
	ds_load_b128 v[8:11], v147 offset:16
	v_cndmask_b32_e64 v12, 0x80000000, 0, s0
	s_wait_loadcnt 0x0
	v_dual_cndmask_b32 v0, 0, v0 :: v_dual_cndmask_b32 v1, 0, v1
	v_dual_cndmask_b32 v3, 0, v3 :: v_dual_cndmask_b32 v2, 0, v2
	s_delay_alu instid0(VALU_DEP_2) | instskip(SKIP_1) | instid1(VALU_DEP_4)
	v_cvt_f32_f16_e32 v13, v0
	v_lshrrev_b32_e32 v0, 16, v0
	v_cvt_f32_f16_e32 v14, v1
	v_lshrrev_b32_e32 v1, 16, v1
	;; [unrolled: 2-line block ×4, first 2 shown]
	v_mul_f32_e32 v13, s25, v13
	v_cvt_f32_f16_e32 v17, v0
	v_mul_f32_e32 v14, s25, v14
	v_cvt_f32_f16_e32 v18, v1
	;; [unrolled: 2-line block ×4, first 2 shown]
	s_wait_dscnt 0x1
	v_fma_mixlo_f16 v0, v4, s24, v13
	v_fma_mixlo_f16 v1, v6, s24, v14
	s_wait_dscnt 0x0
	v_fma_mixlo_f16 v2, v8, s24, v15
	v_fma_mixlo_f16 v3, v10, s24, v16
	v_mul_f32_e32 v4, s25, v20
	v_mul_f32_e32 v6, s25, v19
	;; [unrolled: 1-line block ×3, first 2 shown]
	v_dual_mul_f32 v10, s25, v17 :: v_dual_add_nc_u32 v13, s13, v108
	s_delay_alu instid0(VALU_DEP_4) | instskip(NEXT) | instid1(VALU_DEP_4)
	v_fma_mixhi_f16 v3, v11, s24, v4
	v_fma_mixhi_f16 v2, v9, s24, v6
	s_delay_alu instid0(VALU_DEP_4) | instskip(NEXT) | instid1(VALU_DEP_4)
	v_fma_mixhi_f16 v1, v7, s24, v8
	v_fma_mixhi_f16 v0, v5, s24, v10
	v_lshl_add_u32 v4, v13, 1, v12
	buffer_store_b128 v[0:3], v4, s[8:11], null offen
	s_nop 0
	s_sendmsg sendmsg(MSG_DEALLOC_VGPRS)
	s_endpgm
	.section	.rodata,"a",@progbits
	.p2align	6, 0x0
	.amdhsa_kernel _ZN2ck36kernel_gemm_mupltipe_d_wmma_cshuffleINS_26GridwiseGemmMultipleD_WmmaIDF16_DF16_ffNS_5TupleIJDF16_EEEDF16_NS_16TensorDescriptorINS2_IJNS_5EmbedINS2_IJiiEEENS2_IJiNS_17integral_constantIiLi1EEEEEELb0EEENS_8RightPadIiiLb0EEESC_NS_7UnMergeINS2_IJiNS7_IiLi8EEEEEELb0EEENS_11PassThroughIiEEEEENS2_IJNS_8SequenceIJLi0EEEENSK_IJLi1EEEENSK_IJLi2EEEENSK_IJLi4EEEENSK_IJLi3EEEEEEENS2_IJNSK_IJLi1ELi2EEEESP_SO_NSK_IJLi5ELi6EEEENSK_IJLi7EEEEEEENSK_IJLi5ELi7ELi6EEEElEESW_NS2_IJNS4_INS2_IJSA_SC_SC_EEENS2_IJSL_SM_SN_EEENS2_IJSR_SP_SO_EEENSK_IJLi3ELi4EEEElEEEEES11_NS_16tensor_operation12element_wise11PassThroughES15_12AlphaBetaAddLNS_25InMemoryDataOperationEnumE0ELi128ELi64ELi64ELi16ELi16ELi8ELi4ELi2ELi128ENSK_IJLi4ELi32ELi1EEEENSK_IJLi1ELi0ELi2EEEES19_Li2ELi8ELi8ELb0ELb1ELb1ES18_S19_S19_Li2ELi8ELi8ELb0ELb1ELb1ELi1ELi1ENSK_IJLi1ELi32ELi1ELi4EEEELi8ELi2ELNS_13LoopSchedulerE0ELNS_15PipelineVersionE0EEEDF16_DF16_NS2_IJPKDF16_EEEDF16_SW_SW_NS2_IJNS4_INS2_IJSA_SC_SC_NSD_INS2_IJiNS7_IiLi128EEEEEELb0EEENSD_INS2_IJiNS7_IiLi64EEEEEELb0EEEEEENS2_IJSL_SM_SN_SP_SO_EEENS2_IJSR_SP_SO_SS_NSK_IJLi7ELi8EEEEEEENSK_IJLi5ELi6ELi7ELi8EEEElEEEEES1S_S15_S15_S16_NS_31BlockToCTileMap_M00_N0_M01AdaptILi128ELi64ES11_iEELb0EEEvPKT0_PKT1_T2_PT3_T4_T5_T6_T7_T8_T9_T10_T11_
		.amdhsa_group_segment_fixed_size 24800
		.amdhsa_private_segment_fixed_size 0
		.amdhsa_kernarg_size 360
		.amdhsa_user_sgpr_count 2
		.amdhsa_user_sgpr_dispatch_ptr 0
		.amdhsa_user_sgpr_queue_ptr 0
		.amdhsa_user_sgpr_kernarg_segment_ptr 1
		.amdhsa_user_sgpr_dispatch_id 0
		.amdhsa_user_sgpr_private_segment_size 0
		.amdhsa_wavefront_size32 1
		.amdhsa_uses_dynamic_stack 0
		.amdhsa_enable_private_segment 0
		.amdhsa_system_sgpr_workgroup_id_x 1
		.amdhsa_system_sgpr_workgroup_id_y 0
		.amdhsa_system_sgpr_workgroup_id_z 0
		.amdhsa_system_sgpr_workgroup_info 0
		.amdhsa_system_vgpr_workitem_id 0
		.amdhsa_next_free_vgpr 213
		.amdhsa_next_free_sgpr 29
		.amdhsa_reserve_vcc 1
		.amdhsa_float_round_mode_32 0
		.amdhsa_float_round_mode_16_64 0
		.amdhsa_float_denorm_mode_32 3
		.amdhsa_float_denorm_mode_16_64 3
		.amdhsa_fp16_overflow 0
		.amdhsa_workgroup_processor_mode 1
		.amdhsa_memory_ordered 1
		.amdhsa_forward_progress 1
		.amdhsa_inst_pref_size 56
		.amdhsa_round_robin_scheduling 0
		.amdhsa_exception_fp_ieee_invalid_op 0
		.amdhsa_exception_fp_denorm_src 0
		.amdhsa_exception_fp_ieee_div_zero 0
		.amdhsa_exception_fp_ieee_overflow 0
		.amdhsa_exception_fp_ieee_underflow 0
		.amdhsa_exception_fp_ieee_inexact 0
		.amdhsa_exception_int_div_zero 0
	.end_amdhsa_kernel
	.section	.text._ZN2ck36kernel_gemm_mupltipe_d_wmma_cshuffleINS_26GridwiseGemmMultipleD_WmmaIDF16_DF16_ffNS_5TupleIJDF16_EEEDF16_NS_16TensorDescriptorINS2_IJNS_5EmbedINS2_IJiiEEENS2_IJiNS_17integral_constantIiLi1EEEEEELb0EEENS_8RightPadIiiLb0EEESC_NS_7UnMergeINS2_IJiNS7_IiLi8EEEEEELb0EEENS_11PassThroughIiEEEEENS2_IJNS_8SequenceIJLi0EEEENSK_IJLi1EEEENSK_IJLi2EEEENSK_IJLi4EEEENSK_IJLi3EEEEEEENS2_IJNSK_IJLi1ELi2EEEESP_SO_NSK_IJLi5ELi6EEEENSK_IJLi7EEEEEEENSK_IJLi5ELi7ELi6EEEElEESW_NS2_IJNS4_INS2_IJSA_SC_SC_EEENS2_IJSL_SM_SN_EEENS2_IJSR_SP_SO_EEENSK_IJLi3ELi4EEEElEEEEES11_NS_16tensor_operation12element_wise11PassThroughES15_12AlphaBetaAddLNS_25InMemoryDataOperationEnumE0ELi128ELi64ELi64ELi16ELi16ELi8ELi4ELi2ELi128ENSK_IJLi4ELi32ELi1EEEENSK_IJLi1ELi0ELi2EEEES19_Li2ELi8ELi8ELb0ELb1ELb1ES18_S19_S19_Li2ELi8ELi8ELb0ELb1ELb1ELi1ELi1ENSK_IJLi1ELi32ELi1ELi4EEEELi8ELi2ELNS_13LoopSchedulerE0ELNS_15PipelineVersionE0EEEDF16_DF16_NS2_IJPKDF16_EEEDF16_SW_SW_NS2_IJNS4_INS2_IJSA_SC_SC_NSD_INS2_IJiNS7_IiLi128EEEEEELb0EEENSD_INS2_IJiNS7_IiLi64EEEEEELb0EEEEEENS2_IJSL_SM_SN_SP_SO_EEENS2_IJSR_SP_SO_SS_NSK_IJLi7ELi8EEEEEEENSK_IJLi5ELi6ELi7ELi8EEEElEEEEES1S_S15_S15_S16_NS_31BlockToCTileMap_M00_N0_M01AdaptILi128ELi64ES11_iEELb0EEEvPKT0_PKT1_T2_PT3_T4_T5_T6_T7_T8_T9_T10_T11_,"axG",@progbits,_ZN2ck36kernel_gemm_mupltipe_d_wmma_cshuffleINS_26GridwiseGemmMultipleD_WmmaIDF16_DF16_ffNS_5TupleIJDF16_EEEDF16_NS_16TensorDescriptorINS2_IJNS_5EmbedINS2_IJiiEEENS2_IJiNS_17integral_constantIiLi1EEEEEELb0EEENS_8RightPadIiiLb0EEESC_NS_7UnMergeINS2_IJiNS7_IiLi8EEEEEELb0EEENS_11PassThroughIiEEEEENS2_IJNS_8SequenceIJLi0EEEENSK_IJLi1EEEENSK_IJLi2EEEENSK_IJLi4EEEENSK_IJLi3EEEEEEENS2_IJNSK_IJLi1ELi2EEEESP_SO_NSK_IJLi5ELi6EEEENSK_IJLi7EEEEEEENSK_IJLi5ELi7ELi6EEEElEESW_NS2_IJNS4_INS2_IJSA_SC_SC_EEENS2_IJSL_SM_SN_EEENS2_IJSR_SP_SO_EEENSK_IJLi3ELi4EEEElEEEEES11_NS_16tensor_operation12element_wise11PassThroughES15_12AlphaBetaAddLNS_25InMemoryDataOperationEnumE0ELi128ELi64ELi64ELi16ELi16ELi8ELi4ELi2ELi128ENSK_IJLi4ELi32ELi1EEEENSK_IJLi1ELi0ELi2EEEES19_Li2ELi8ELi8ELb0ELb1ELb1ES18_S19_S19_Li2ELi8ELi8ELb0ELb1ELb1ELi1ELi1ENSK_IJLi1ELi32ELi1ELi4EEEELi8ELi2ELNS_13LoopSchedulerE0ELNS_15PipelineVersionE0EEEDF16_DF16_NS2_IJPKDF16_EEEDF16_SW_SW_NS2_IJNS4_INS2_IJSA_SC_SC_NSD_INS2_IJiNS7_IiLi128EEEEEELb0EEENSD_INS2_IJiNS7_IiLi64EEEEEELb0EEEEEENS2_IJSL_SM_SN_SP_SO_EEENS2_IJSR_SP_SO_SS_NSK_IJLi7ELi8EEEEEEENSK_IJLi5ELi6ELi7ELi8EEEElEEEEES1S_S15_S15_S16_NS_31BlockToCTileMap_M00_N0_M01AdaptILi128ELi64ES11_iEELb0EEEvPKT0_PKT1_T2_PT3_T4_T5_T6_T7_T8_T9_T10_T11_,comdat
.Lfunc_end2:
	.size	_ZN2ck36kernel_gemm_mupltipe_d_wmma_cshuffleINS_26GridwiseGemmMultipleD_WmmaIDF16_DF16_ffNS_5TupleIJDF16_EEEDF16_NS_16TensorDescriptorINS2_IJNS_5EmbedINS2_IJiiEEENS2_IJiNS_17integral_constantIiLi1EEEEEELb0EEENS_8RightPadIiiLb0EEESC_NS_7UnMergeINS2_IJiNS7_IiLi8EEEEEELb0EEENS_11PassThroughIiEEEEENS2_IJNS_8SequenceIJLi0EEEENSK_IJLi1EEEENSK_IJLi2EEEENSK_IJLi4EEEENSK_IJLi3EEEEEEENS2_IJNSK_IJLi1ELi2EEEESP_SO_NSK_IJLi5ELi6EEEENSK_IJLi7EEEEEEENSK_IJLi5ELi7ELi6EEEElEESW_NS2_IJNS4_INS2_IJSA_SC_SC_EEENS2_IJSL_SM_SN_EEENS2_IJSR_SP_SO_EEENSK_IJLi3ELi4EEEElEEEEES11_NS_16tensor_operation12element_wise11PassThroughES15_12AlphaBetaAddLNS_25InMemoryDataOperationEnumE0ELi128ELi64ELi64ELi16ELi16ELi8ELi4ELi2ELi128ENSK_IJLi4ELi32ELi1EEEENSK_IJLi1ELi0ELi2EEEES19_Li2ELi8ELi8ELb0ELb1ELb1ES18_S19_S19_Li2ELi8ELi8ELb0ELb1ELb1ELi1ELi1ENSK_IJLi1ELi32ELi1ELi4EEEELi8ELi2ELNS_13LoopSchedulerE0ELNS_15PipelineVersionE0EEEDF16_DF16_NS2_IJPKDF16_EEEDF16_SW_SW_NS2_IJNS4_INS2_IJSA_SC_SC_NSD_INS2_IJiNS7_IiLi128EEEEEELb0EEENSD_INS2_IJiNS7_IiLi64EEEEEELb0EEEEEENS2_IJSL_SM_SN_SP_SO_EEENS2_IJSR_SP_SO_SS_NSK_IJLi7ELi8EEEEEEENSK_IJLi5ELi6ELi7ELi8EEEElEEEEES1S_S15_S15_S16_NS_31BlockToCTileMap_M00_N0_M01AdaptILi128ELi64ES11_iEELb0EEEvPKT0_PKT1_T2_PT3_T4_T5_T6_T7_T8_T9_T10_T11_, .Lfunc_end2-_ZN2ck36kernel_gemm_mupltipe_d_wmma_cshuffleINS_26GridwiseGemmMultipleD_WmmaIDF16_DF16_ffNS_5TupleIJDF16_EEEDF16_NS_16TensorDescriptorINS2_IJNS_5EmbedINS2_IJiiEEENS2_IJiNS_17integral_constantIiLi1EEEEEELb0EEENS_8RightPadIiiLb0EEESC_NS_7UnMergeINS2_IJiNS7_IiLi8EEEEEELb0EEENS_11PassThroughIiEEEEENS2_IJNS_8SequenceIJLi0EEEENSK_IJLi1EEEENSK_IJLi2EEEENSK_IJLi4EEEENSK_IJLi3EEEEEEENS2_IJNSK_IJLi1ELi2EEEESP_SO_NSK_IJLi5ELi6EEEENSK_IJLi7EEEEEEENSK_IJLi5ELi7ELi6EEEElEESW_NS2_IJNS4_INS2_IJSA_SC_SC_EEENS2_IJSL_SM_SN_EEENS2_IJSR_SP_SO_EEENSK_IJLi3ELi4EEEElEEEEES11_NS_16tensor_operation12element_wise11PassThroughES15_12AlphaBetaAddLNS_25InMemoryDataOperationEnumE0ELi128ELi64ELi64ELi16ELi16ELi8ELi4ELi2ELi128ENSK_IJLi4ELi32ELi1EEEENSK_IJLi1ELi0ELi2EEEES19_Li2ELi8ELi8ELb0ELb1ELb1ES18_S19_S19_Li2ELi8ELi8ELb0ELb1ELb1ELi1ELi1ENSK_IJLi1ELi32ELi1ELi4EEEELi8ELi2ELNS_13LoopSchedulerE0ELNS_15PipelineVersionE0EEEDF16_DF16_NS2_IJPKDF16_EEEDF16_SW_SW_NS2_IJNS4_INS2_IJSA_SC_SC_NSD_INS2_IJiNS7_IiLi128EEEEEELb0EEENSD_INS2_IJiNS7_IiLi64EEEEEELb0EEEEEENS2_IJSL_SM_SN_SP_SO_EEENS2_IJSR_SP_SO_SS_NSK_IJLi7ELi8EEEEEEENSK_IJLi5ELi6ELi7ELi8EEEElEEEEES1S_S15_S15_S16_NS_31BlockToCTileMap_M00_N0_M01AdaptILi128ELi64ES11_iEELb0EEEvPKT0_PKT1_T2_PT3_T4_T5_T6_T7_T8_T9_T10_T11_
                                        ; -- End function
	.set _ZN2ck36kernel_gemm_mupltipe_d_wmma_cshuffleINS_26GridwiseGemmMultipleD_WmmaIDF16_DF16_ffNS_5TupleIJDF16_EEEDF16_NS_16TensorDescriptorINS2_IJNS_5EmbedINS2_IJiiEEENS2_IJiNS_17integral_constantIiLi1EEEEEELb0EEENS_8RightPadIiiLb0EEESC_NS_7UnMergeINS2_IJiNS7_IiLi8EEEEEELb0EEENS_11PassThroughIiEEEEENS2_IJNS_8SequenceIJLi0EEEENSK_IJLi1EEEENSK_IJLi2EEEENSK_IJLi4EEEENSK_IJLi3EEEEEEENS2_IJNSK_IJLi1ELi2EEEESP_SO_NSK_IJLi5ELi6EEEENSK_IJLi7EEEEEEENSK_IJLi5ELi7ELi6EEEElEESW_NS2_IJNS4_INS2_IJSA_SC_SC_EEENS2_IJSL_SM_SN_EEENS2_IJSR_SP_SO_EEENSK_IJLi3ELi4EEEElEEEEES11_NS_16tensor_operation12element_wise11PassThroughES15_12AlphaBetaAddLNS_25InMemoryDataOperationEnumE0ELi128ELi64ELi64ELi16ELi16ELi8ELi4ELi2ELi128ENSK_IJLi4ELi32ELi1EEEENSK_IJLi1ELi0ELi2EEEES19_Li2ELi8ELi8ELb0ELb1ELb1ES18_S19_S19_Li2ELi8ELi8ELb0ELb1ELb1ELi1ELi1ENSK_IJLi1ELi32ELi1ELi4EEEELi8ELi2ELNS_13LoopSchedulerE0ELNS_15PipelineVersionE0EEEDF16_DF16_NS2_IJPKDF16_EEEDF16_SW_SW_NS2_IJNS4_INS2_IJSA_SC_SC_NSD_INS2_IJiNS7_IiLi128EEEEEELb0EEENSD_INS2_IJiNS7_IiLi64EEEEEELb0EEEEEENS2_IJSL_SM_SN_SP_SO_EEENS2_IJSR_SP_SO_SS_NSK_IJLi7ELi8EEEEEEENSK_IJLi5ELi6ELi7ELi8EEEElEEEEES1S_S15_S15_S16_NS_31BlockToCTileMap_M00_N0_M01AdaptILi128ELi64ES11_iEELb0EEEvPKT0_PKT1_T2_PT3_T4_T5_T6_T7_T8_T9_T10_T11_.num_vgpr, 213
	.set _ZN2ck36kernel_gemm_mupltipe_d_wmma_cshuffleINS_26GridwiseGemmMultipleD_WmmaIDF16_DF16_ffNS_5TupleIJDF16_EEEDF16_NS_16TensorDescriptorINS2_IJNS_5EmbedINS2_IJiiEEENS2_IJiNS_17integral_constantIiLi1EEEEEELb0EEENS_8RightPadIiiLb0EEESC_NS_7UnMergeINS2_IJiNS7_IiLi8EEEEEELb0EEENS_11PassThroughIiEEEEENS2_IJNS_8SequenceIJLi0EEEENSK_IJLi1EEEENSK_IJLi2EEEENSK_IJLi4EEEENSK_IJLi3EEEEEEENS2_IJNSK_IJLi1ELi2EEEESP_SO_NSK_IJLi5ELi6EEEENSK_IJLi7EEEEEEENSK_IJLi5ELi7ELi6EEEElEESW_NS2_IJNS4_INS2_IJSA_SC_SC_EEENS2_IJSL_SM_SN_EEENS2_IJSR_SP_SO_EEENSK_IJLi3ELi4EEEElEEEEES11_NS_16tensor_operation12element_wise11PassThroughES15_12AlphaBetaAddLNS_25InMemoryDataOperationEnumE0ELi128ELi64ELi64ELi16ELi16ELi8ELi4ELi2ELi128ENSK_IJLi4ELi32ELi1EEEENSK_IJLi1ELi0ELi2EEEES19_Li2ELi8ELi8ELb0ELb1ELb1ES18_S19_S19_Li2ELi8ELi8ELb0ELb1ELb1ELi1ELi1ENSK_IJLi1ELi32ELi1ELi4EEEELi8ELi2ELNS_13LoopSchedulerE0ELNS_15PipelineVersionE0EEEDF16_DF16_NS2_IJPKDF16_EEEDF16_SW_SW_NS2_IJNS4_INS2_IJSA_SC_SC_NSD_INS2_IJiNS7_IiLi128EEEEEELb0EEENSD_INS2_IJiNS7_IiLi64EEEEEELb0EEEEEENS2_IJSL_SM_SN_SP_SO_EEENS2_IJSR_SP_SO_SS_NSK_IJLi7ELi8EEEEEEENSK_IJLi5ELi6ELi7ELi8EEEElEEEEES1S_S15_S15_S16_NS_31BlockToCTileMap_M00_N0_M01AdaptILi128ELi64ES11_iEELb0EEEvPKT0_PKT1_T2_PT3_T4_T5_T6_T7_T8_T9_T10_T11_.num_agpr, 0
	.set _ZN2ck36kernel_gemm_mupltipe_d_wmma_cshuffleINS_26GridwiseGemmMultipleD_WmmaIDF16_DF16_ffNS_5TupleIJDF16_EEEDF16_NS_16TensorDescriptorINS2_IJNS_5EmbedINS2_IJiiEEENS2_IJiNS_17integral_constantIiLi1EEEEEELb0EEENS_8RightPadIiiLb0EEESC_NS_7UnMergeINS2_IJiNS7_IiLi8EEEEEELb0EEENS_11PassThroughIiEEEEENS2_IJNS_8SequenceIJLi0EEEENSK_IJLi1EEEENSK_IJLi2EEEENSK_IJLi4EEEENSK_IJLi3EEEEEEENS2_IJNSK_IJLi1ELi2EEEESP_SO_NSK_IJLi5ELi6EEEENSK_IJLi7EEEEEEENSK_IJLi5ELi7ELi6EEEElEESW_NS2_IJNS4_INS2_IJSA_SC_SC_EEENS2_IJSL_SM_SN_EEENS2_IJSR_SP_SO_EEENSK_IJLi3ELi4EEEElEEEEES11_NS_16tensor_operation12element_wise11PassThroughES15_12AlphaBetaAddLNS_25InMemoryDataOperationEnumE0ELi128ELi64ELi64ELi16ELi16ELi8ELi4ELi2ELi128ENSK_IJLi4ELi32ELi1EEEENSK_IJLi1ELi0ELi2EEEES19_Li2ELi8ELi8ELb0ELb1ELb1ES18_S19_S19_Li2ELi8ELi8ELb0ELb1ELb1ELi1ELi1ENSK_IJLi1ELi32ELi1ELi4EEEELi8ELi2ELNS_13LoopSchedulerE0ELNS_15PipelineVersionE0EEEDF16_DF16_NS2_IJPKDF16_EEEDF16_SW_SW_NS2_IJNS4_INS2_IJSA_SC_SC_NSD_INS2_IJiNS7_IiLi128EEEEEELb0EEENSD_INS2_IJiNS7_IiLi64EEEEEELb0EEEEEENS2_IJSL_SM_SN_SP_SO_EEENS2_IJSR_SP_SO_SS_NSK_IJLi7ELi8EEEEEEENSK_IJLi5ELi6ELi7ELi8EEEElEEEEES1S_S15_S15_S16_NS_31BlockToCTileMap_M00_N0_M01AdaptILi128ELi64ES11_iEELb0EEEvPKT0_PKT1_T2_PT3_T4_T5_T6_T7_T8_T9_T10_T11_.numbered_sgpr, 29
	.set _ZN2ck36kernel_gemm_mupltipe_d_wmma_cshuffleINS_26GridwiseGemmMultipleD_WmmaIDF16_DF16_ffNS_5TupleIJDF16_EEEDF16_NS_16TensorDescriptorINS2_IJNS_5EmbedINS2_IJiiEEENS2_IJiNS_17integral_constantIiLi1EEEEEELb0EEENS_8RightPadIiiLb0EEESC_NS_7UnMergeINS2_IJiNS7_IiLi8EEEEEELb0EEENS_11PassThroughIiEEEEENS2_IJNS_8SequenceIJLi0EEEENSK_IJLi1EEEENSK_IJLi2EEEENSK_IJLi4EEEENSK_IJLi3EEEEEEENS2_IJNSK_IJLi1ELi2EEEESP_SO_NSK_IJLi5ELi6EEEENSK_IJLi7EEEEEEENSK_IJLi5ELi7ELi6EEEElEESW_NS2_IJNS4_INS2_IJSA_SC_SC_EEENS2_IJSL_SM_SN_EEENS2_IJSR_SP_SO_EEENSK_IJLi3ELi4EEEElEEEEES11_NS_16tensor_operation12element_wise11PassThroughES15_12AlphaBetaAddLNS_25InMemoryDataOperationEnumE0ELi128ELi64ELi64ELi16ELi16ELi8ELi4ELi2ELi128ENSK_IJLi4ELi32ELi1EEEENSK_IJLi1ELi0ELi2EEEES19_Li2ELi8ELi8ELb0ELb1ELb1ES18_S19_S19_Li2ELi8ELi8ELb0ELb1ELb1ELi1ELi1ENSK_IJLi1ELi32ELi1ELi4EEEELi8ELi2ELNS_13LoopSchedulerE0ELNS_15PipelineVersionE0EEEDF16_DF16_NS2_IJPKDF16_EEEDF16_SW_SW_NS2_IJNS4_INS2_IJSA_SC_SC_NSD_INS2_IJiNS7_IiLi128EEEEEELb0EEENSD_INS2_IJiNS7_IiLi64EEEEEELb0EEEEEENS2_IJSL_SM_SN_SP_SO_EEENS2_IJSR_SP_SO_SS_NSK_IJLi7ELi8EEEEEEENSK_IJLi5ELi6ELi7ELi8EEEElEEEEES1S_S15_S15_S16_NS_31BlockToCTileMap_M00_N0_M01AdaptILi128ELi64ES11_iEELb0EEEvPKT0_PKT1_T2_PT3_T4_T5_T6_T7_T8_T9_T10_T11_.num_named_barrier, 0
	.set _ZN2ck36kernel_gemm_mupltipe_d_wmma_cshuffleINS_26GridwiseGemmMultipleD_WmmaIDF16_DF16_ffNS_5TupleIJDF16_EEEDF16_NS_16TensorDescriptorINS2_IJNS_5EmbedINS2_IJiiEEENS2_IJiNS_17integral_constantIiLi1EEEEEELb0EEENS_8RightPadIiiLb0EEESC_NS_7UnMergeINS2_IJiNS7_IiLi8EEEEEELb0EEENS_11PassThroughIiEEEEENS2_IJNS_8SequenceIJLi0EEEENSK_IJLi1EEEENSK_IJLi2EEEENSK_IJLi4EEEENSK_IJLi3EEEEEEENS2_IJNSK_IJLi1ELi2EEEESP_SO_NSK_IJLi5ELi6EEEENSK_IJLi7EEEEEEENSK_IJLi5ELi7ELi6EEEElEESW_NS2_IJNS4_INS2_IJSA_SC_SC_EEENS2_IJSL_SM_SN_EEENS2_IJSR_SP_SO_EEENSK_IJLi3ELi4EEEElEEEEES11_NS_16tensor_operation12element_wise11PassThroughES15_12AlphaBetaAddLNS_25InMemoryDataOperationEnumE0ELi128ELi64ELi64ELi16ELi16ELi8ELi4ELi2ELi128ENSK_IJLi4ELi32ELi1EEEENSK_IJLi1ELi0ELi2EEEES19_Li2ELi8ELi8ELb0ELb1ELb1ES18_S19_S19_Li2ELi8ELi8ELb0ELb1ELb1ELi1ELi1ENSK_IJLi1ELi32ELi1ELi4EEEELi8ELi2ELNS_13LoopSchedulerE0ELNS_15PipelineVersionE0EEEDF16_DF16_NS2_IJPKDF16_EEEDF16_SW_SW_NS2_IJNS4_INS2_IJSA_SC_SC_NSD_INS2_IJiNS7_IiLi128EEEEEELb0EEENSD_INS2_IJiNS7_IiLi64EEEEEELb0EEEEEENS2_IJSL_SM_SN_SP_SO_EEENS2_IJSR_SP_SO_SS_NSK_IJLi7ELi8EEEEEEENSK_IJLi5ELi6ELi7ELi8EEEElEEEEES1S_S15_S15_S16_NS_31BlockToCTileMap_M00_N0_M01AdaptILi128ELi64ES11_iEELb0EEEvPKT0_PKT1_T2_PT3_T4_T5_T6_T7_T8_T9_T10_T11_.private_seg_size, 0
	.set _ZN2ck36kernel_gemm_mupltipe_d_wmma_cshuffleINS_26GridwiseGemmMultipleD_WmmaIDF16_DF16_ffNS_5TupleIJDF16_EEEDF16_NS_16TensorDescriptorINS2_IJNS_5EmbedINS2_IJiiEEENS2_IJiNS_17integral_constantIiLi1EEEEEELb0EEENS_8RightPadIiiLb0EEESC_NS_7UnMergeINS2_IJiNS7_IiLi8EEEEEELb0EEENS_11PassThroughIiEEEEENS2_IJNS_8SequenceIJLi0EEEENSK_IJLi1EEEENSK_IJLi2EEEENSK_IJLi4EEEENSK_IJLi3EEEEEEENS2_IJNSK_IJLi1ELi2EEEESP_SO_NSK_IJLi5ELi6EEEENSK_IJLi7EEEEEEENSK_IJLi5ELi7ELi6EEEElEESW_NS2_IJNS4_INS2_IJSA_SC_SC_EEENS2_IJSL_SM_SN_EEENS2_IJSR_SP_SO_EEENSK_IJLi3ELi4EEEElEEEEES11_NS_16tensor_operation12element_wise11PassThroughES15_12AlphaBetaAddLNS_25InMemoryDataOperationEnumE0ELi128ELi64ELi64ELi16ELi16ELi8ELi4ELi2ELi128ENSK_IJLi4ELi32ELi1EEEENSK_IJLi1ELi0ELi2EEEES19_Li2ELi8ELi8ELb0ELb1ELb1ES18_S19_S19_Li2ELi8ELi8ELb0ELb1ELb1ELi1ELi1ENSK_IJLi1ELi32ELi1ELi4EEEELi8ELi2ELNS_13LoopSchedulerE0ELNS_15PipelineVersionE0EEEDF16_DF16_NS2_IJPKDF16_EEEDF16_SW_SW_NS2_IJNS4_INS2_IJSA_SC_SC_NSD_INS2_IJiNS7_IiLi128EEEEEELb0EEENSD_INS2_IJiNS7_IiLi64EEEEEELb0EEEEEENS2_IJSL_SM_SN_SP_SO_EEENS2_IJSR_SP_SO_SS_NSK_IJLi7ELi8EEEEEEENSK_IJLi5ELi6ELi7ELi8EEEElEEEEES1S_S15_S15_S16_NS_31BlockToCTileMap_M00_N0_M01AdaptILi128ELi64ES11_iEELb0EEEvPKT0_PKT1_T2_PT3_T4_T5_T6_T7_T8_T9_T10_T11_.uses_vcc, 1
	.set _ZN2ck36kernel_gemm_mupltipe_d_wmma_cshuffleINS_26GridwiseGemmMultipleD_WmmaIDF16_DF16_ffNS_5TupleIJDF16_EEEDF16_NS_16TensorDescriptorINS2_IJNS_5EmbedINS2_IJiiEEENS2_IJiNS_17integral_constantIiLi1EEEEEELb0EEENS_8RightPadIiiLb0EEESC_NS_7UnMergeINS2_IJiNS7_IiLi8EEEEEELb0EEENS_11PassThroughIiEEEEENS2_IJNS_8SequenceIJLi0EEEENSK_IJLi1EEEENSK_IJLi2EEEENSK_IJLi4EEEENSK_IJLi3EEEEEEENS2_IJNSK_IJLi1ELi2EEEESP_SO_NSK_IJLi5ELi6EEEENSK_IJLi7EEEEEEENSK_IJLi5ELi7ELi6EEEElEESW_NS2_IJNS4_INS2_IJSA_SC_SC_EEENS2_IJSL_SM_SN_EEENS2_IJSR_SP_SO_EEENSK_IJLi3ELi4EEEElEEEEES11_NS_16tensor_operation12element_wise11PassThroughES15_12AlphaBetaAddLNS_25InMemoryDataOperationEnumE0ELi128ELi64ELi64ELi16ELi16ELi8ELi4ELi2ELi128ENSK_IJLi4ELi32ELi1EEEENSK_IJLi1ELi0ELi2EEEES19_Li2ELi8ELi8ELb0ELb1ELb1ES18_S19_S19_Li2ELi8ELi8ELb0ELb1ELb1ELi1ELi1ENSK_IJLi1ELi32ELi1ELi4EEEELi8ELi2ELNS_13LoopSchedulerE0ELNS_15PipelineVersionE0EEEDF16_DF16_NS2_IJPKDF16_EEEDF16_SW_SW_NS2_IJNS4_INS2_IJSA_SC_SC_NSD_INS2_IJiNS7_IiLi128EEEEEELb0EEENSD_INS2_IJiNS7_IiLi64EEEEEELb0EEEEEENS2_IJSL_SM_SN_SP_SO_EEENS2_IJSR_SP_SO_SS_NSK_IJLi7ELi8EEEEEEENSK_IJLi5ELi6ELi7ELi8EEEElEEEEES1S_S15_S15_S16_NS_31BlockToCTileMap_M00_N0_M01AdaptILi128ELi64ES11_iEELb0EEEvPKT0_PKT1_T2_PT3_T4_T5_T6_T7_T8_T9_T10_T11_.uses_flat_scratch, 0
	.set _ZN2ck36kernel_gemm_mupltipe_d_wmma_cshuffleINS_26GridwiseGemmMultipleD_WmmaIDF16_DF16_ffNS_5TupleIJDF16_EEEDF16_NS_16TensorDescriptorINS2_IJNS_5EmbedINS2_IJiiEEENS2_IJiNS_17integral_constantIiLi1EEEEEELb0EEENS_8RightPadIiiLb0EEESC_NS_7UnMergeINS2_IJiNS7_IiLi8EEEEEELb0EEENS_11PassThroughIiEEEEENS2_IJNS_8SequenceIJLi0EEEENSK_IJLi1EEEENSK_IJLi2EEEENSK_IJLi4EEEENSK_IJLi3EEEEEEENS2_IJNSK_IJLi1ELi2EEEESP_SO_NSK_IJLi5ELi6EEEENSK_IJLi7EEEEEEENSK_IJLi5ELi7ELi6EEEElEESW_NS2_IJNS4_INS2_IJSA_SC_SC_EEENS2_IJSL_SM_SN_EEENS2_IJSR_SP_SO_EEENSK_IJLi3ELi4EEEElEEEEES11_NS_16tensor_operation12element_wise11PassThroughES15_12AlphaBetaAddLNS_25InMemoryDataOperationEnumE0ELi128ELi64ELi64ELi16ELi16ELi8ELi4ELi2ELi128ENSK_IJLi4ELi32ELi1EEEENSK_IJLi1ELi0ELi2EEEES19_Li2ELi8ELi8ELb0ELb1ELb1ES18_S19_S19_Li2ELi8ELi8ELb0ELb1ELb1ELi1ELi1ENSK_IJLi1ELi32ELi1ELi4EEEELi8ELi2ELNS_13LoopSchedulerE0ELNS_15PipelineVersionE0EEEDF16_DF16_NS2_IJPKDF16_EEEDF16_SW_SW_NS2_IJNS4_INS2_IJSA_SC_SC_NSD_INS2_IJiNS7_IiLi128EEEEEELb0EEENSD_INS2_IJiNS7_IiLi64EEEEEELb0EEEEEENS2_IJSL_SM_SN_SP_SO_EEENS2_IJSR_SP_SO_SS_NSK_IJLi7ELi8EEEEEEENSK_IJLi5ELi6ELi7ELi8EEEElEEEEES1S_S15_S15_S16_NS_31BlockToCTileMap_M00_N0_M01AdaptILi128ELi64ES11_iEELb0EEEvPKT0_PKT1_T2_PT3_T4_T5_T6_T7_T8_T9_T10_T11_.has_dyn_sized_stack, 0
	.set _ZN2ck36kernel_gemm_mupltipe_d_wmma_cshuffleINS_26GridwiseGemmMultipleD_WmmaIDF16_DF16_ffNS_5TupleIJDF16_EEEDF16_NS_16TensorDescriptorINS2_IJNS_5EmbedINS2_IJiiEEENS2_IJiNS_17integral_constantIiLi1EEEEEELb0EEENS_8RightPadIiiLb0EEESC_NS_7UnMergeINS2_IJiNS7_IiLi8EEEEEELb0EEENS_11PassThroughIiEEEEENS2_IJNS_8SequenceIJLi0EEEENSK_IJLi1EEEENSK_IJLi2EEEENSK_IJLi4EEEENSK_IJLi3EEEEEEENS2_IJNSK_IJLi1ELi2EEEESP_SO_NSK_IJLi5ELi6EEEENSK_IJLi7EEEEEEENSK_IJLi5ELi7ELi6EEEElEESW_NS2_IJNS4_INS2_IJSA_SC_SC_EEENS2_IJSL_SM_SN_EEENS2_IJSR_SP_SO_EEENSK_IJLi3ELi4EEEElEEEEES11_NS_16tensor_operation12element_wise11PassThroughES15_12AlphaBetaAddLNS_25InMemoryDataOperationEnumE0ELi128ELi64ELi64ELi16ELi16ELi8ELi4ELi2ELi128ENSK_IJLi4ELi32ELi1EEEENSK_IJLi1ELi0ELi2EEEES19_Li2ELi8ELi8ELb0ELb1ELb1ES18_S19_S19_Li2ELi8ELi8ELb0ELb1ELb1ELi1ELi1ENSK_IJLi1ELi32ELi1ELi4EEEELi8ELi2ELNS_13LoopSchedulerE0ELNS_15PipelineVersionE0EEEDF16_DF16_NS2_IJPKDF16_EEEDF16_SW_SW_NS2_IJNS4_INS2_IJSA_SC_SC_NSD_INS2_IJiNS7_IiLi128EEEEEELb0EEENSD_INS2_IJiNS7_IiLi64EEEEEELb0EEEEEENS2_IJSL_SM_SN_SP_SO_EEENS2_IJSR_SP_SO_SS_NSK_IJLi7ELi8EEEEEEENSK_IJLi5ELi6ELi7ELi8EEEElEEEEES1S_S15_S15_S16_NS_31BlockToCTileMap_M00_N0_M01AdaptILi128ELi64ES11_iEELb0EEEvPKT0_PKT1_T2_PT3_T4_T5_T6_T7_T8_T9_T10_T11_.has_recursion, 0
	.set _ZN2ck36kernel_gemm_mupltipe_d_wmma_cshuffleINS_26GridwiseGemmMultipleD_WmmaIDF16_DF16_ffNS_5TupleIJDF16_EEEDF16_NS_16TensorDescriptorINS2_IJNS_5EmbedINS2_IJiiEEENS2_IJiNS_17integral_constantIiLi1EEEEEELb0EEENS_8RightPadIiiLb0EEESC_NS_7UnMergeINS2_IJiNS7_IiLi8EEEEEELb0EEENS_11PassThroughIiEEEEENS2_IJNS_8SequenceIJLi0EEEENSK_IJLi1EEEENSK_IJLi2EEEENSK_IJLi4EEEENSK_IJLi3EEEEEEENS2_IJNSK_IJLi1ELi2EEEESP_SO_NSK_IJLi5ELi6EEEENSK_IJLi7EEEEEEENSK_IJLi5ELi7ELi6EEEElEESW_NS2_IJNS4_INS2_IJSA_SC_SC_EEENS2_IJSL_SM_SN_EEENS2_IJSR_SP_SO_EEENSK_IJLi3ELi4EEEElEEEEES11_NS_16tensor_operation12element_wise11PassThroughES15_12AlphaBetaAddLNS_25InMemoryDataOperationEnumE0ELi128ELi64ELi64ELi16ELi16ELi8ELi4ELi2ELi128ENSK_IJLi4ELi32ELi1EEEENSK_IJLi1ELi0ELi2EEEES19_Li2ELi8ELi8ELb0ELb1ELb1ES18_S19_S19_Li2ELi8ELi8ELb0ELb1ELb1ELi1ELi1ENSK_IJLi1ELi32ELi1ELi4EEEELi8ELi2ELNS_13LoopSchedulerE0ELNS_15PipelineVersionE0EEEDF16_DF16_NS2_IJPKDF16_EEEDF16_SW_SW_NS2_IJNS4_INS2_IJSA_SC_SC_NSD_INS2_IJiNS7_IiLi128EEEEEELb0EEENSD_INS2_IJiNS7_IiLi64EEEEEELb0EEEEEENS2_IJSL_SM_SN_SP_SO_EEENS2_IJSR_SP_SO_SS_NSK_IJLi7ELi8EEEEEEENSK_IJLi5ELi6ELi7ELi8EEEElEEEEES1S_S15_S15_S16_NS_31BlockToCTileMap_M00_N0_M01AdaptILi128ELi64ES11_iEELb0EEEvPKT0_PKT1_T2_PT3_T4_T5_T6_T7_T8_T9_T10_T11_.has_indirect_call, 0
	.section	.AMDGPU.csdata,"",@progbits
; Kernel info:
; codeLenInByte = 7044
; TotalNumSgprs: 31
; NumVgprs: 213
; ScratchSize: 0
; MemoryBound: 0
; FloatMode: 240
; IeeeMode: 1
; LDSByteSize: 24800 bytes/workgroup (compile time only)
; SGPRBlocks: 0
; VGPRBlocks: 26
; NumSGPRsForWavesPerEU: 31
; NumVGPRsForWavesPerEU: 213
; Occupancy: 7
; WaveLimiterHint : 0
; COMPUTE_PGM_RSRC2:SCRATCH_EN: 0
; COMPUTE_PGM_RSRC2:USER_SGPR: 2
; COMPUTE_PGM_RSRC2:TRAP_HANDLER: 0
; COMPUTE_PGM_RSRC2:TGID_X_EN: 1
; COMPUTE_PGM_RSRC2:TGID_Y_EN: 0
; COMPUTE_PGM_RSRC2:TGID_Z_EN: 0
; COMPUTE_PGM_RSRC2:TIDIG_COMP_CNT: 0
	.section	.AMDGPU.gpr_maximums,"",@progbits
	.set amdgpu.max_num_vgpr, 0
	.set amdgpu.max_num_agpr, 0
	.set amdgpu.max_num_sgpr, 0
	.section	.AMDGPU.csdata,"",@progbits
	.type	__hip_cuid_64f77eb4f77deb06,@object ; @__hip_cuid_64f77eb4f77deb06
	.section	.bss,"aw",@nobits
	.globl	__hip_cuid_64f77eb4f77deb06
__hip_cuid_64f77eb4f77deb06:
	.byte	0                               ; 0x0
	.size	__hip_cuid_64f77eb4f77deb06, 1

	.ident	"AMD clang version 22.0.0git (https://github.com/RadeonOpenCompute/llvm-project roc-7.2.4 26084 f58b06dce1f9c15707c5f808fd002e18c2accf7e)"
	.section	".note.GNU-stack","",@progbits
	.addrsig
	.addrsig_sym __hip_cuid_64f77eb4f77deb06
	.amdgpu_metadata
---
amdhsa.kernels:
  - .args:           []
    .group_segment_fixed_size: 0
    .kernarg_segment_align: 4
    .kernarg_segment_size: 0
    .language:       OpenCL C
    .language_version:
      - 2
      - 0
    .max_flat_workgroup_size: 1024
    .name:           _ZN2ckL12flush_icacheEv
    .private_segment_fixed_size: 0
    .sgpr_count:     0
    .sgpr_spill_count: 0
    .symbol:         _ZN2ckL12flush_icacheEv.kd
    .uniform_work_group_size: 1
    .uses_dynamic_stack: false
    .vgpr_count:     0
    .vgpr_spill_count: 0
    .wavefront_size: 32
    .workgroup_processor_mode: 1
  - .args:
      - .actual_access:  read_only
        .address_space:  global
        .offset:         0
        .size:           8
        .value_kind:     global_buffer
      - .actual_access:  read_only
        .address_space:  global
        .offset:         8
        .size:           8
        .value_kind:     global_buffer
      - .address_space:  global
        .offset:         16
        .size:           8
        .value_kind:     global_buffer
      - .actual_access:  write_only
        .address_space:  global
        .offset:         24
        .size:           8
        .value_kind:     global_buffer
      - .offset:         32
        .size:           72
        .value_kind:     by_value
      - .offset:         104
        .size:           72
        .value_kind:     by_value
      - .offset:         176
        .size:           80
        .value_kind:     by_value
      - .offset:         256
        .size:           80
        .value_kind:     by_value
      - .offset:         336
        .size:           1
        .value_kind:     by_value
      - .offset:         337
        .size:           1
        .value_kind:     by_value
      - .offset:         340
        .size:           8
        .value_kind:     by_value
      - .offset:         348
        .size:           12
        .value_kind:     by_value
    .group_segment_fixed_size: 24800
    .kernarg_segment_align: 8
    .kernarg_segment_size: 360
    .language:       OpenCL C
    .language_version:
      - 2
      - 0
    .max_flat_workgroup_size: 256
    .name:           _ZN2ck36kernel_gemm_mupltipe_d_wmma_cshuffleINS_26GridwiseGemmMultipleD_WmmaIDF16_DF16_ffNS_5TupleIJDF16_EEEDF16_NS_16TensorDescriptorINS2_IJNS_5EmbedINS2_IJiiEEENS2_IJiNS_17integral_constantIiLi1EEEEEELb0EEENS_8RightPadIiiLb0EEESC_NS_7UnMergeINS2_IJiNS7_IiLi8EEEEEELb0EEENS_11PassThroughIiEEEEENS2_IJNS_8SequenceIJLi0EEEENSK_IJLi1EEEENSK_IJLi2EEEENSK_IJLi4EEEENSK_IJLi3EEEEEEENS2_IJNSK_IJLi1ELi2EEEESP_SO_NSK_IJLi5ELi6EEEENSK_IJLi7EEEEEEENSK_IJLi5ELi7ELi6EEEElEESW_NS2_IJNS4_INS2_IJSA_SC_SC_EEENS2_IJSL_SM_SN_EEENS2_IJSR_SP_SO_EEENSK_IJLi3ELi4EEEElEEEEES11_NS_16tensor_operation12element_wise11PassThroughES15_12AlphaBetaAddLNS_25InMemoryDataOperationEnumE0ELi128ELi64ELi64ELi16ELi16ELi8ELi4ELi2ELi128ENSK_IJLi4ELi32ELi1EEEENSK_IJLi1ELi0ELi2EEEES19_Li2ELi8ELi8ELb0ELb1ELb1ES18_S19_S19_Li2ELi8ELi8ELb0ELb1ELb1ELi1ELi1ENSK_IJLi1ELi32ELi1ELi4EEEELi8ELi2ELNS_13LoopSchedulerE0ELNS_15PipelineVersionE0EEEDF16_DF16_NS2_IJPKDF16_EEEDF16_SW_SW_NS2_IJNS4_INS2_IJSA_SC_SC_NSD_INS2_IJiNS7_IiLi128EEEEEELb0EEENSD_INS2_IJiNS7_IiLi64EEEEEELb0EEEEEENS2_IJSL_SM_SN_SP_SO_EEENS2_IJSR_SP_SO_SS_NSK_IJLi7ELi8EEEEEEENSK_IJLi5ELi6ELi7ELi8EEEElEEEEES1S_S15_S15_S16_NS_31BlockToCTileMap_M00_N0_M01AdaptILi128ELi64ES11_iEELb1EEEvPKT0_PKT1_T2_PT3_T4_T5_T6_T7_T8_T9_T10_T11_
    .private_segment_fixed_size: 36
    .sgpr_count:     87
    .sgpr_spill_count: 0
    .symbol:         _ZN2ck36kernel_gemm_mupltipe_d_wmma_cshuffleINS_26GridwiseGemmMultipleD_WmmaIDF16_DF16_ffNS_5TupleIJDF16_EEEDF16_NS_16TensorDescriptorINS2_IJNS_5EmbedINS2_IJiiEEENS2_IJiNS_17integral_constantIiLi1EEEEEELb0EEENS_8RightPadIiiLb0EEESC_NS_7UnMergeINS2_IJiNS7_IiLi8EEEEEELb0EEENS_11PassThroughIiEEEEENS2_IJNS_8SequenceIJLi0EEEENSK_IJLi1EEEENSK_IJLi2EEEENSK_IJLi4EEEENSK_IJLi3EEEEEEENS2_IJNSK_IJLi1ELi2EEEESP_SO_NSK_IJLi5ELi6EEEENSK_IJLi7EEEEEEENSK_IJLi5ELi7ELi6EEEElEESW_NS2_IJNS4_INS2_IJSA_SC_SC_EEENS2_IJSL_SM_SN_EEENS2_IJSR_SP_SO_EEENSK_IJLi3ELi4EEEElEEEEES11_NS_16tensor_operation12element_wise11PassThroughES15_12AlphaBetaAddLNS_25InMemoryDataOperationEnumE0ELi128ELi64ELi64ELi16ELi16ELi8ELi4ELi2ELi128ENSK_IJLi4ELi32ELi1EEEENSK_IJLi1ELi0ELi2EEEES19_Li2ELi8ELi8ELb0ELb1ELb1ES18_S19_S19_Li2ELi8ELi8ELb0ELb1ELb1ELi1ELi1ENSK_IJLi1ELi32ELi1ELi4EEEELi8ELi2ELNS_13LoopSchedulerE0ELNS_15PipelineVersionE0EEEDF16_DF16_NS2_IJPKDF16_EEEDF16_SW_SW_NS2_IJNS4_INS2_IJSA_SC_SC_NSD_INS2_IJiNS7_IiLi128EEEEEELb0EEENSD_INS2_IJiNS7_IiLi64EEEEEELb0EEEEEENS2_IJSL_SM_SN_SP_SO_EEENS2_IJSR_SP_SO_SS_NSK_IJLi7ELi8EEEEEEENSK_IJLi5ELi6ELi7ELi8EEEElEEEEES1S_S15_S15_S16_NS_31BlockToCTileMap_M00_N0_M01AdaptILi128ELi64ES11_iEELb1EEEvPKT0_PKT1_T2_PT3_T4_T5_T6_T7_T8_T9_T10_T11_.kd
    .uniform_work_group_size: 1
    .uses_dynamic_stack: false
    .vgpr_count:     256
    .vgpr_spill_count: 12
    .wavefront_size: 32
    .workgroup_processor_mode: 1
  - .args:
      - .actual_access:  read_only
        .address_space:  global
        .offset:         0
        .size:           8
        .value_kind:     global_buffer
      - .actual_access:  read_only
        .address_space:  global
        .offset:         8
        .size:           8
        .value_kind:     global_buffer
      - .address_space:  global
        .offset:         16
        .size:           8
        .value_kind:     global_buffer
      - .actual_access:  write_only
        .address_space:  global
        .offset:         24
        .size:           8
        .value_kind:     global_buffer
      - .offset:         32
        .size:           72
        .value_kind:     by_value
      - .offset:         104
        .size:           72
        .value_kind:     by_value
      - .offset:         176
        .size:           80
        .value_kind:     by_value
      - .offset:         256
        .size:           80
        .value_kind:     by_value
      - .offset:         336
        .size:           1
        .value_kind:     by_value
      - .offset:         337
        .size:           1
        .value_kind:     by_value
      - .offset:         340
        .size:           8
        .value_kind:     by_value
      - .offset:         348
        .size:           12
        .value_kind:     by_value
    .group_segment_fixed_size: 24800
    .kernarg_segment_align: 8
    .kernarg_segment_size: 360
    .language:       OpenCL C
    .language_version:
      - 2
      - 0
    .max_flat_workgroup_size: 256
    .name:           _ZN2ck36kernel_gemm_mupltipe_d_wmma_cshuffleINS_26GridwiseGemmMultipleD_WmmaIDF16_DF16_ffNS_5TupleIJDF16_EEEDF16_NS_16TensorDescriptorINS2_IJNS_5EmbedINS2_IJiiEEENS2_IJiNS_17integral_constantIiLi1EEEEEELb0EEENS_8RightPadIiiLb0EEESC_NS_7UnMergeINS2_IJiNS7_IiLi8EEEEEELb0EEENS_11PassThroughIiEEEEENS2_IJNS_8SequenceIJLi0EEEENSK_IJLi1EEEENSK_IJLi2EEEENSK_IJLi4EEEENSK_IJLi3EEEEEEENS2_IJNSK_IJLi1ELi2EEEESP_SO_NSK_IJLi5ELi6EEEENSK_IJLi7EEEEEEENSK_IJLi5ELi7ELi6EEEElEESW_NS2_IJNS4_INS2_IJSA_SC_SC_EEENS2_IJSL_SM_SN_EEENS2_IJSR_SP_SO_EEENSK_IJLi3ELi4EEEElEEEEES11_NS_16tensor_operation12element_wise11PassThroughES15_12AlphaBetaAddLNS_25InMemoryDataOperationEnumE0ELi128ELi64ELi64ELi16ELi16ELi8ELi4ELi2ELi128ENSK_IJLi4ELi32ELi1EEEENSK_IJLi1ELi0ELi2EEEES19_Li2ELi8ELi8ELb0ELb1ELb1ES18_S19_S19_Li2ELi8ELi8ELb0ELb1ELb1ELi1ELi1ENSK_IJLi1ELi32ELi1ELi4EEEELi8ELi2ELNS_13LoopSchedulerE0ELNS_15PipelineVersionE0EEEDF16_DF16_NS2_IJPKDF16_EEEDF16_SW_SW_NS2_IJNS4_INS2_IJSA_SC_SC_NSD_INS2_IJiNS7_IiLi128EEEEEELb0EEENSD_INS2_IJiNS7_IiLi64EEEEEELb0EEEEEENS2_IJSL_SM_SN_SP_SO_EEENS2_IJSR_SP_SO_SS_NSK_IJLi7ELi8EEEEEEENSK_IJLi5ELi6ELi7ELi8EEEElEEEEES1S_S15_S15_S16_NS_31BlockToCTileMap_M00_N0_M01AdaptILi128ELi64ES11_iEELb0EEEvPKT0_PKT1_T2_PT3_T4_T5_T6_T7_T8_T9_T10_T11_
    .private_segment_fixed_size: 0
    .sgpr_count:     31
    .sgpr_spill_count: 0
    .symbol:         _ZN2ck36kernel_gemm_mupltipe_d_wmma_cshuffleINS_26GridwiseGemmMultipleD_WmmaIDF16_DF16_ffNS_5TupleIJDF16_EEEDF16_NS_16TensorDescriptorINS2_IJNS_5EmbedINS2_IJiiEEENS2_IJiNS_17integral_constantIiLi1EEEEEELb0EEENS_8RightPadIiiLb0EEESC_NS_7UnMergeINS2_IJiNS7_IiLi8EEEEEELb0EEENS_11PassThroughIiEEEEENS2_IJNS_8SequenceIJLi0EEEENSK_IJLi1EEEENSK_IJLi2EEEENSK_IJLi4EEEENSK_IJLi3EEEEEEENS2_IJNSK_IJLi1ELi2EEEESP_SO_NSK_IJLi5ELi6EEEENSK_IJLi7EEEEEEENSK_IJLi5ELi7ELi6EEEElEESW_NS2_IJNS4_INS2_IJSA_SC_SC_EEENS2_IJSL_SM_SN_EEENS2_IJSR_SP_SO_EEENSK_IJLi3ELi4EEEElEEEEES11_NS_16tensor_operation12element_wise11PassThroughES15_12AlphaBetaAddLNS_25InMemoryDataOperationEnumE0ELi128ELi64ELi64ELi16ELi16ELi8ELi4ELi2ELi128ENSK_IJLi4ELi32ELi1EEEENSK_IJLi1ELi0ELi2EEEES19_Li2ELi8ELi8ELb0ELb1ELb1ES18_S19_S19_Li2ELi8ELi8ELb0ELb1ELb1ELi1ELi1ENSK_IJLi1ELi32ELi1ELi4EEEELi8ELi2ELNS_13LoopSchedulerE0ELNS_15PipelineVersionE0EEEDF16_DF16_NS2_IJPKDF16_EEEDF16_SW_SW_NS2_IJNS4_INS2_IJSA_SC_SC_NSD_INS2_IJiNS7_IiLi128EEEEEELb0EEENSD_INS2_IJiNS7_IiLi64EEEEEELb0EEEEEENS2_IJSL_SM_SN_SP_SO_EEENS2_IJSR_SP_SO_SS_NSK_IJLi7ELi8EEEEEEENSK_IJLi5ELi6ELi7ELi8EEEElEEEEES1S_S15_S15_S16_NS_31BlockToCTileMap_M00_N0_M01AdaptILi128ELi64ES11_iEELb0EEEvPKT0_PKT1_T2_PT3_T4_T5_T6_T7_T8_T9_T10_T11_.kd
    .uniform_work_group_size: 1
    .uses_dynamic_stack: false
    .vgpr_count:     213
    .vgpr_spill_count: 0
    .wavefront_size: 32
    .workgroup_processor_mode: 1
amdhsa.target:   amdgcn-amd-amdhsa--gfx1201
amdhsa.version:
  - 1
  - 2
...

	.end_amdgpu_metadata
